;; amdgpu-corpus repo=ROCm/rocFFT kind=compiled arch=gfx906 opt=O3
	.text
	.amdgcn_target "amdgcn-amd-amdhsa--gfx906"
	.amdhsa_code_object_version 6
	.protected	fft_rtc_back_len150_factors_10_5_3_wgs_60_tpt_5_halfLds_dp_ip_CI_sbrr_dirReg ; -- Begin function fft_rtc_back_len150_factors_10_5_3_wgs_60_tpt_5_halfLds_dp_ip_CI_sbrr_dirReg
	.globl	fft_rtc_back_len150_factors_10_5_3_wgs_60_tpt_5_halfLds_dp_ip_CI_sbrr_dirReg
	.p2align	8
	.type	fft_rtc_back_len150_factors_10_5_3_wgs_60_tpt_5_halfLds_dp_ip_CI_sbrr_dirReg,@function
fft_rtc_back_len150_factors_10_5_3_wgs_60_tpt_5_halfLds_dp_ip_CI_sbrr_dirReg: ; @fft_rtc_back_len150_factors_10_5_3_wgs_60_tpt_5_halfLds_dp_ip_CI_sbrr_dirReg
; %bb.0:
	s_load_dwordx2 s[14:15], s[4:5], 0x18
	s_load_dwordx4 s[8:11], s[4:5], 0x0
	s_load_dwordx2 s[12:13], s[4:5], 0x50
	v_mul_u32_u24_e32 v1, 0x3334, v0
	v_lshrrev_b32_e32 v1, 16, v1
	v_mad_u64_u32 v[122:123], s[0:1], s6, 12, v[1:2]
	s_waitcnt lgkmcnt(0)
	s_load_dwordx2 s[2:3], s[14:15], 0x0
	v_mov_b32_e32 v3, 0
	v_cmp_lt_u64_e64 s[0:1], s[10:11], 2
	v_mov_b32_e32 v123, v3
	v_mov_b32_e32 v1, 0
	;; [unrolled: 1-line block ×3, first 2 shown]
	s_and_b64 vcc, exec, s[0:1]
	v_mov_b32_e32 v2, 0
	v_mov_b32_e32 v8, v123
	s_cbranch_vccnz .LBB0_8
; %bb.1:
	s_load_dwordx2 s[0:1], s[4:5], 0x10
	s_add_u32 s6, s14, 8
	s_addc_u32 s7, s15, 0
	v_mov_b32_e32 v1, 0
	v_mov_b32_e32 v5, v122
	s_waitcnt lgkmcnt(0)
	s_add_u32 s18, s0, 8
	s_mov_b64 s[16:17], 1
	v_mov_b32_e32 v2, 0
	s_addc_u32 s19, s1, 0
	v_mov_b32_e32 v6, v123
.LBB0_2:                                ; =>This Inner Loop Header: Depth=1
	s_load_dwordx2 s[20:21], s[18:19], 0x0
                                        ; implicit-def: $vgpr7_vgpr8
	s_waitcnt lgkmcnt(0)
	v_or_b32_e32 v4, s21, v6
	v_cmp_ne_u64_e32 vcc, 0, v[3:4]
	s_and_saveexec_b64 s[0:1], vcc
	s_xor_b64 s[22:23], exec, s[0:1]
	s_cbranch_execz .LBB0_4
; %bb.3:                                ;   in Loop: Header=BB0_2 Depth=1
	v_cvt_f32_u32_e32 v4, s20
	v_cvt_f32_u32_e32 v7, s21
	s_sub_u32 s0, 0, s20
	s_subb_u32 s1, 0, s21
	v_mac_f32_e32 v4, 0x4f800000, v7
	v_rcp_f32_e32 v4, v4
	v_mul_f32_e32 v4, 0x5f7ffffc, v4
	v_mul_f32_e32 v7, 0x2f800000, v4
	v_trunc_f32_e32 v7, v7
	v_mac_f32_e32 v4, 0xcf800000, v7
	v_cvt_u32_f32_e32 v7, v7
	v_cvt_u32_f32_e32 v4, v4
	v_mul_lo_u32 v8, s0, v7
	v_mul_hi_u32 v9, s0, v4
	v_mul_lo_u32 v11, s1, v4
	v_mul_lo_u32 v10, s0, v4
	v_add_u32_e32 v8, v9, v8
	v_add_u32_e32 v8, v8, v11
	v_mul_hi_u32 v9, v4, v10
	v_mul_lo_u32 v11, v4, v8
	v_mul_hi_u32 v13, v4, v8
	v_mul_hi_u32 v12, v7, v10
	v_mul_lo_u32 v10, v7, v10
	v_mul_hi_u32 v14, v7, v8
	v_add_co_u32_e32 v9, vcc, v9, v11
	v_addc_co_u32_e32 v11, vcc, 0, v13, vcc
	v_mul_lo_u32 v8, v7, v8
	v_add_co_u32_e32 v9, vcc, v9, v10
	v_addc_co_u32_e32 v9, vcc, v11, v12, vcc
	v_addc_co_u32_e32 v10, vcc, 0, v14, vcc
	v_add_co_u32_e32 v8, vcc, v9, v8
	v_addc_co_u32_e32 v9, vcc, 0, v10, vcc
	v_add_co_u32_e32 v4, vcc, v4, v8
	v_addc_co_u32_e32 v7, vcc, v7, v9, vcc
	v_mul_lo_u32 v8, s0, v7
	v_mul_hi_u32 v9, s0, v4
	v_mul_lo_u32 v10, s1, v4
	v_mul_lo_u32 v11, s0, v4
	v_add_u32_e32 v8, v9, v8
	v_add_u32_e32 v8, v8, v10
	v_mul_lo_u32 v12, v4, v8
	v_mul_hi_u32 v13, v4, v11
	v_mul_hi_u32 v14, v4, v8
	;; [unrolled: 1-line block ×3, first 2 shown]
	v_mul_lo_u32 v11, v7, v11
	v_mul_hi_u32 v9, v7, v8
	v_add_co_u32_e32 v12, vcc, v13, v12
	v_addc_co_u32_e32 v13, vcc, 0, v14, vcc
	v_mul_lo_u32 v8, v7, v8
	v_add_co_u32_e32 v11, vcc, v12, v11
	v_addc_co_u32_e32 v10, vcc, v13, v10, vcc
	v_addc_co_u32_e32 v9, vcc, 0, v9, vcc
	v_add_co_u32_e32 v8, vcc, v10, v8
	v_addc_co_u32_e32 v9, vcc, 0, v9, vcc
	v_add_co_u32_e32 v4, vcc, v4, v8
	v_addc_co_u32_e32 v9, vcc, v7, v9, vcc
	v_mad_u64_u32 v[7:8], s[0:1], v5, v9, 0
	v_mul_hi_u32 v10, v5, v4
	v_add_co_u32_e32 v11, vcc, v10, v7
	v_addc_co_u32_e32 v12, vcc, 0, v8, vcc
	v_mad_u64_u32 v[7:8], s[0:1], v6, v4, 0
	v_mad_u64_u32 v[9:10], s[0:1], v6, v9, 0
	v_add_co_u32_e32 v4, vcc, v11, v7
	v_addc_co_u32_e32 v4, vcc, v12, v8, vcc
	v_addc_co_u32_e32 v7, vcc, 0, v10, vcc
	v_add_co_u32_e32 v4, vcc, v4, v9
	v_addc_co_u32_e32 v9, vcc, 0, v7, vcc
	v_mul_lo_u32 v10, s21, v4
	v_mul_lo_u32 v11, s20, v9
	v_mad_u64_u32 v[7:8], s[0:1], s20, v4, 0
	v_add3_u32 v8, v8, v11, v10
	v_sub_u32_e32 v10, v6, v8
	v_mov_b32_e32 v11, s21
	v_sub_co_u32_e32 v7, vcc, v5, v7
	v_subb_co_u32_e64 v10, s[0:1], v10, v11, vcc
	v_subrev_co_u32_e64 v11, s[0:1], s20, v7
	v_subbrev_co_u32_e64 v10, s[0:1], 0, v10, s[0:1]
	v_cmp_le_u32_e64 s[0:1], s21, v10
	v_cndmask_b32_e64 v12, 0, -1, s[0:1]
	v_cmp_le_u32_e64 s[0:1], s20, v11
	v_cndmask_b32_e64 v11, 0, -1, s[0:1]
	v_cmp_eq_u32_e64 s[0:1], s21, v10
	v_cndmask_b32_e64 v10, v12, v11, s[0:1]
	v_add_co_u32_e64 v11, s[0:1], 2, v4
	v_addc_co_u32_e64 v12, s[0:1], 0, v9, s[0:1]
	v_add_co_u32_e64 v13, s[0:1], 1, v4
	v_addc_co_u32_e64 v14, s[0:1], 0, v9, s[0:1]
	v_subb_co_u32_e32 v8, vcc, v6, v8, vcc
	v_cmp_ne_u32_e64 s[0:1], 0, v10
	v_cmp_le_u32_e32 vcc, s21, v8
	v_cndmask_b32_e64 v10, v14, v12, s[0:1]
	v_cndmask_b32_e64 v12, 0, -1, vcc
	v_cmp_le_u32_e32 vcc, s20, v7
	v_cndmask_b32_e64 v7, 0, -1, vcc
	v_cmp_eq_u32_e32 vcc, s21, v8
	v_cndmask_b32_e32 v7, v12, v7, vcc
	v_cmp_ne_u32_e32 vcc, 0, v7
	v_cndmask_b32_e64 v7, v13, v11, s[0:1]
	v_cndmask_b32_e32 v8, v9, v10, vcc
	v_cndmask_b32_e32 v7, v4, v7, vcc
.LBB0_4:                                ;   in Loop: Header=BB0_2 Depth=1
	s_andn2_saveexec_b64 s[0:1], s[22:23]
	s_cbranch_execz .LBB0_6
; %bb.5:                                ;   in Loop: Header=BB0_2 Depth=1
	v_cvt_f32_u32_e32 v4, s20
	s_sub_i32 s22, 0, s20
	v_rcp_iflag_f32_e32 v4, v4
	v_mul_f32_e32 v4, 0x4f7ffffe, v4
	v_cvt_u32_f32_e32 v4, v4
	v_mul_lo_u32 v7, s22, v4
	v_mul_hi_u32 v7, v4, v7
	v_add_u32_e32 v4, v4, v7
	v_mul_hi_u32 v4, v5, v4
	v_mul_lo_u32 v7, v4, s20
	v_add_u32_e32 v8, 1, v4
	v_sub_u32_e32 v7, v5, v7
	v_subrev_u32_e32 v9, s20, v7
	v_cmp_le_u32_e32 vcc, s20, v7
	v_cndmask_b32_e32 v7, v7, v9, vcc
	v_cndmask_b32_e32 v4, v4, v8, vcc
	v_add_u32_e32 v8, 1, v4
	v_cmp_le_u32_e32 vcc, s20, v7
	v_cndmask_b32_e32 v7, v4, v8, vcc
	v_mov_b32_e32 v8, v3
.LBB0_6:                                ;   in Loop: Header=BB0_2 Depth=1
	s_or_b64 exec, exec, s[0:1]
	v_mul_lo_u32 v4, v8, s20
	v_mul_lo_u32 v11, v7, s21
	v_mad_u64_u32 v[9:10], s[0:1], v7, s20, 0
	s_load_dwordx2 s[0:1], s[6:7], 0x0
	s_add_u32 s16, s16, 1
	v_add3_u32 v4, v10, v11, v4
	v_sub_co_u32_e32 v5, vcc, v5, v9
	v_subb_co_u32_e32 v4, vcc, v6, v4, vcc
	s_waitcnt lgkmcnt(0)
	v_mul_lo_u32 v4, s0, v4
	v_mul_lo_u32 v6, s1, v5
	v_mad_u64_u32 v[1:2], s[0:1], s0, v5, v[1:2]
	s_addc_u32 s17, s17, 0
	s_add_u32 s6, s6, 8
	v_add3_u32 v2, v6, v2, v4
	v_mov_b32_e32 v4, s10
	v_mov_b32_e32 v5, s11
	s_addc_u32 s7, s7, 0
	v_cmp_ge_u64_e32 vcc, s[16:17], v[4:5]
	s_add_u32 s18, s18, 8
	s_addc_u32 s19, s19, 0
	s_cbranch_vccnz .LBB0_8
; %bb.7:                                ;   in Loop: Header=BB0_2 Depth=1
	v_mov_b32_e32 v5, v7
	v_mov_b32_e32 v6, v8
	s_branch .LBB0_2
.LBB0_8:
	s_lshl_b64 s[0:1], s[10:11], 3
	s_add_u32 s0, s14, s0
	s_addc_u32 s1, s15, s1
	s_load_dwordx2 s[6:7], s[0:1], 0x0
	s_load_dwordx2 s[10:11], s[4:5], 0x20
                                        ; implicit-def: $vgpr136
                                        ; implicit-def: $vgpr137
                                        ; implicit-def: $vgpr142
                                        ; implicit-def: $vgpr143
                                        ; implicit-def: $vgpr144
                                        ; implicit-def: $vgpr138
                                        ; implicit-def: $vgpr145
                                        ; implicit-def: $vgpr139
                                        ; implicit-def: $vgpr140
                                        ; implicit-def: $vgpr141
	s_waitcnt lgkmcnt(0)
	v_mad_u64_u32 v[1:2], s[0:1], s6, v7, v[1:2]
	s_mov_b32 s0, 0x33333334
	v_mul_lo_u32 v3, s6, v8
	v_mul_lo_u32 v4, s7, v7
	v_mul_hi_u32 v5, v0, s0
	v_cmp_gt_u64_e32 vcc, s[10:11], v[7:8]
	v_cmp_le_u64_e64 s[0:1], s[10:11], v[7:8]
	v_add3_u32 v2, v4, v2, v3
	v_mul_u32_u24_e32 v3, 5, v5
	v_sub_u32_e32 v124, v0, v3
	v_add_u32_e32 v133, 5, v124
	v_add_u32_e32 v131, 10, v124
	v_add_u32_e32 v127, 30, v124
	v_add_u32_e32 v126, 35, v124
	v_or_b32_e32 v125, 40, v124
	v_add_u32_e32 v130, 15, v124
	v_add_u32_e32 v123, 45, v124
	;; [unrolled: 1-line block ×4, first 2 shown]
	s_and_saveexec_b64 s[4:5], s[0:1]
	s_xor_b64 s[0:1], exec, s[4:5]
; %bb.9:
	v_add_u32_e32 v136, 5, v124
	v_add_u32_e32 v137, 10, v124
	;; [unrolled: 1-line block ×4, first 2 shown]
	v_or_b32_e32 v144, 40, v124
	v_add_u32_e32 v138, 15, v124
	v_add_u32_e32 v145, 45, v124
	;; [unrolled: 1-line block ×4, first 2 shown]
	v_or_b32_e32 v141, 0x50, v124
; %bb.10:
	s_or_saveexec_b64 s[4:5], s[0:1]
	v_lshlrev_b64 v[120:121], 4, v[1:2]
	v_add_u32_e32 v132, 60, v124
	v_add_u32_e32 v134, 50, v124
	;; [unrolled: 1-line block ×3, first 2 shown]
                                        ; implicit-def: $vgpr30_vgpr31
                                        ; implicit-def: $vgpr82_vgpr83
                                        ; implicit-def: $vgpr38_vgpr39
                                        ; implicit-def: $vgpr78_vgpr79
                                        ; implicit-def: $vgpr46_vgpr47
                                        ; implicit-def: $vgpr90_vgpr91
                                        ; implicit-def: $vgpr50_vgpr51
                                        ; implicit-def: $vgpr86_vgpr87
                                        ; implicit-def: $vgpr54_vgpr55
                                        ; implicit-def: $vgpr94_vgpr95
                                        ; implicit-def: $vgpr106_vgpr107
                                        ; implicit-def: $vgpr114_vgpr115
                                        ; implicit-def: $vgpr110_vgpr111
                                        ; implicit-def: $vgpr118_vgpr119
                                        ; implicit-def: $vgpr14_vgpr15
                                        ; implicit-def: $vgpr58_vgpr59
                                        ; implicit-def: $vgpr6_vgpr7
                                        ; implicit-def: $vgpr26_vgpr27
                                        ; implicit-def: $vgpr2_vgpr3
                                        ; implicit-def: $vgpr18_vgpr19
                                        ; implicit-def: $vgpr70_vgpr71
                                        ; implicit-def: $vgpr102_vgpr103
                                        ; implicit-def: $vgpr66_vgpr67
                                        ; implicit-def: $vgpr98_vgpr99
                                        ; implicit-def: $vgpr34_vgpr35
                                        ; implicit-def: $vgpr74_vgpr75
                                        ; implicit-def: $vgpr22_vgpr23
                                        ; implicit-def: $vgpr62_vgpr63
                                        ; implicit-def: $vgpr10_vgpr11
                                        ; implicit-def: $vgpr42_vgpr43
	s_xor_b64 exec, exec, s[4:5]
	s_cbranch_execz .LBB0_12
; %bb.11:
	v_mad_u64_u32 v[0:1], s[0:1], s2, v124, 0
	v_mov_b32_e32 v4, s13
	v_add_u32_e32 v12, 0x4b, v124
	v_mad_u64_u32 v[1:2], s[0:1], s3, v124, v[1:2]
	v_mad_u64_u32 v[2:3], s[0:1], s2, v130, 0
	v_add_co_u32_e64 v28, s[0:1], s12, v120
	v_addc_co_u32_e64 v29, s[0:1], v4, v121, s[0:1]
	v_lshlrev_b64 v[0:1], 4, v[0:1]
	v_mad_u64_u32 v[3:4], s[0:1], s3, v130, v[3:4]
	v_add_co_u32_e64 v0, s[0:1], v28, v0
	v_addc_co_u32_e64 v1, s[0:1], v29, v1, s[0:1]
	v_mad_u64_u32 v[4:5], s[0:1], s2, v127, 0
	v_lshlrev_b64 v[2:3], 4, v[2:3]
	v_or_b32_e32 v141, 0x50, v124
	v_add_co_u32_e64 v2, s[0:1], v28, v2
	v_addc_co_u32_e64 v3, s[0:1], v29, v3, s[0:1]
	v_mad_u64_u32 v[5:6], s[0:1], s3, v127, v[5:6]
	v_mad_u64_u32 v[6:7], s[0:1], s2, v123, 0
	global_load_dwordx4 v[40:43], v[0:1], off
	global_load_dwordx4 v[8:11], v[2:3], off
	v_lshlrev_b64 v[0:1], 4, v[4:5]
	v_mov_b32_e32 v2, v7
	v_mad_u64_u32 v[2:3], s[0:1], s3, v123, v[2:3]
	v_add_co_u32_e64 v0, s[0:1], v28, v0
	v_addc_co_u32_e64 v1, s[0:1], v29, v1, s[0:1]
	v_mov_b32_e32 v7, v2
	v_mad_u64_u32 v[4:5], s[0:1], s2, v132, 0
	v_lshlrev_b64 v[2:3], 4, v[6:7]
	v_add_u32_e32 v47, 0x6e, v124
	v_add_co_u32_e64 v2, s[0:1], v28, v2
	v_addc_co_u32_e64 v3, s[0:1], v29, v3, s[0:1]
	v_mad_u64_u32 v[5:6], s[0:1], s3, v132, v[5:6]
	v_mad_u64_u32 v[6:7], s[0:1], s2, v12, 0
	global_load_dwordx4 v[60:63], v[0:1], off
	global_load_dwordx4 v[20:23], v[2:3], off
	v_lshlrev_b64 v[0:1], 4, v[4:5]
	v_mov_b32_e32 v2, v7
	v_mad_u64_u32 v[2:3], s[0:1], s3, v12, v[2:3]
	v_add_co_u32_e64 v0, s[0:1], v28, v0
	v_mov_b32_e32 v7, v2
	v_lshlrev_b64 v[2:3], 4, v[6:7]
	v_add_u32_e32 v6, 0x5a, v124
	v_addc_co_u32_e64 v1, s[0:1], v29, v1, s[0:1]
	v_mad_u64_u32 v[4:5], s[0:1], s2, v6, 0
	v_add_co_u32_e64 v2, s[0:1], v28, v2
	v_addc_co_u32_e64 v3, s[0:1], v29, v3, s[0:1]
	v_mad_u64_u32 v[5:6], s[0:1], s3, v6, v[5:6]
	v_add_u32_e32 v12, 0x69, v124
	v_mad_u64_u32 v[6:7], s[0:1], s2, v12, 0
	global_load_dwordx4 v[72:75], v[0:1], off
	global_load_dwordx4 v[32:35], v[2:3], off
	v_lshlrev_b64 v[0:1], 4, v[4:5]
	v_mov_b32_e32 v2, v7
	v_mad_u64_u32 v[2:3], s[0:1], s3, v12, v[2:3]
	v_add_co_u32_e64 v0, s[0:1], v28, v0
	v_mov_b32_e32 v7, v2
	v_lshlrev_b64 v[2:3], 4, v[6:7]
	v_or_b32_e32 v6, 0x78, v124
	v_addc_co_u32_e64 v1, s[0:1], v29, v1, s[0:1]
	v_mad_u64_u32 v[4:5], s[0:1], s2, v6, 0
	v_add_co_u32_e64 v2, s[0:1], v28, v2
	v_addc_co_u32_e64 v3, s[0:1], v29, v3, s[0:1]
	v_mad_u64_u32 v[5:6], s[0:1], s3, v6, v[5:6]
	v_add_u32_e32 v12, 0x87, v124
	v_mad_u64_u32 v[6:7], s[0:1], s2, v12, 0
	global_load_dwordx4 v[96:99], v[0:1], off
	global_load_dwordx4 v[64:67], v[2:3], off
	v_lshlrev_b64 v[0:1], 4, v[4:5]
	v_mov_b32_e32 v2, v7
	v_mad_u64_u32 v[2:3], s[0:1], s3, v12, v[2:3]
	v_add_co_u32_e64 v0, s[0:1], v28, v0
	v_addc_co_u32_e64 v1, s[0:1], v29, v1, s[0:1]
	v_mov_b32_e32 v7, v2
	v_mad_u64_u32 v[4:5], s[0:1], s2, v133, 0
	v_lshlrev_b64 v[2:3], 4, v[6:7]
	v_add_u32_e32 v78, 0x46, v124
	v_add_co_u32_e64 v2, s[0:1], v28, v2
	v_addc_co_u32_e64 v3, s[0:1], v29, v3, s[0:1]
	v_mad_u64_u32 v[5:6], s[0:1], s3, v133, v[5:6]
	v_mad_u64_u32 v[6:7], s[0:1], s2, v129, 0
	global_load_dwordx4 v[100:103], v[0:1], off
	global_load_dwordx4 v[68:71], v[2:3], off
	v_lshlrev_b64 v[0:1], 4, v[4:5]
	v_mov_b32_e32 v2, v7
	v_mad_u64_u32 v[2:3], s[0:1], s3, v129, v[2:3]
	v_add_co_u32_e64 v4, s[0:1], v28, v0
	v_mov_b32_e32 v7, v2
	v_addc_co_u32_e64 v5, s[0:1], v29, v1, s[0:1]
	v_lshlrev_b64 v[0:1], 4, v[6:7]
	v_mad_u64_u32 v[6:7], s[0:1], s2, v126, 0
	v_add_co_u32_e64 v12, s[0:1], v28, v0
	v_mov_b32_e32 v0, v7
	v_addc_co_u32_e64 v13, s[0:1], v29, v1, s[0:1]
	v_mad_u64_u32 v[14:15], s[0:1], s3, v126, v[0:1]
	v_mad_u64_u32 v[24:25], s[0:1], s2, v134, 0
	v_mov_b32_e32 v7, v14
	global_load_dwordx4 v[16:19], v[4:5], off
	global_load_dwordx4 v[0:3], v[12:13], off
	v_lshlrev_b64 v[4:5], 4, v[6:7]
	v_mov_b32_e32 v6, v25
	v_mad_u64_u32 v[6:7], s[0:1], s3, v134, v[6:7]
	v_add_co_u32_e64 v12, s[0:1], v28, v4
	v_mov_b32_e32 v25, v6
	v_add_u32_e32 v6, 0x41, v124
	v_addc_co_u32_e64 v13, s[0:1], v29, v5, s[0:1]
	v_mad_u64_u32 v[14:15], s[0:1], s2, v6, 0
	v_lshlrev_b64 v[4:5], 4, v[24:25]
	v_mov_b32_e32 v140, v128
	v_add_co_u32_e64 v30, s[0:1], v28, v4
	v_mov_b32_e32 v4, v15
	v_addc_co_u32_e64 v31, s[0:1], v29, v5, s[0:1]
	v_mad_u64_u32 v[36:37], s[0:1], s3, v6, v[4:5]
	v_mad_u64_u32 v[37:38], s[0:1], s2, v141, 0
	v_mov_b32_e32 v15, v36
	global_load_dwordx4 v[24:27], v[12:13], off
	global_load_dwordx4 v[4:7], v[30:31], off
	v_lshlrev_b64 v[12:13], 4, v[14:15]
	v_mov_b32_e32 v14, v38
	v_mad_u64_u32 v[14:15], s[0:1], s3, v141, v[14:15]
	v_add_co_u32_e64 v30, s[0:1], v28, v12
	v_mov_b32_e32 v38, v14
	v_add_u32_e32 v14, 0x5f, v124
	v_addc_co_u32_e64 v31, s[0:1], v29, v13, s[0:1]
	v_lshlrev_b64 v[12:13], 4, v[37:38]
	v_mad_u64_u32 v[36:37], s[0:1], s2, v14, 0
	v_add_co_u32_e64 v38, s[0:1], v28, v12
	v_mov_b32_e32 v12, v37
	v_addc_co_u32_e64 v39, s[0:1], v29, v13, s[0:1]
	v_mad_u64_u32 v[44:45], s[0:1], s3, v14, v[12:13]
	v_mad_u64_u32 v[45:46], s[0:1], s2, v47, 0
	v_mov_b32_e32 v37, v44
	global_load_dwordx4 v[56:59], v[30:31], off
	global_load_dwordx4 v[12:15], v[38:39], off
	v_lshlrev_b64 v[30:31], 4, v[36:37]
	v_mov_b32_e32 v36, v46
	v_mad_u64_u32 v[36:37], s[0:1], s3, v47, v[36:37]
	v_add_u32_e32 v39, 0x7d, v124
	v_mad_u64_u32 v[37:38], s[0:1], s2, v39, 0
	v_add_co_u32_e64 v30, s[0:1], v28, v30
	v_mov_b32_e32 v46, v36
	v_mov_b32_e32 v36, v38
	v_addc_co_u32_e64 v31, s[0:1], v29, v31, s[0:1]
	v_mad_u64_u32 v[38:39], s[0:1], s3, v39, v[36:37]
	v_add_u32_e32 v39, 0x8c, v124
	v_lshlrev_b64 v[44:45], 4, v[45:46]
	v_mad_u64_u32 v[46:47], s[0:1], s2, v39, 0
	v_add_co_u32_e64 v44, s[0:1], v28, v44
	v_lshlrev_b64 v[36:37], 4, v[37:38]
	v_mov_b32_e32 v38, v47
	v_addc_co_u32_e64 v45, s[0:1], v29, v45, s[0:1]
	v_mad_u64_u32 v[38:39], s[0:1], s3, v39, v[38:39]
	v_mad_u64_u32 v[48:49], s[0:1], s2, v131, 0
	v_mov_b32_e32 v47, v38
	v_add_co_u32_e64 v36, s[0:1], v28, v36
	v_lshlrev_b64 v[38:39], 4, v[46:47]
	v_mov_b32_e32 v46, v49
	v_addc_co_u32_e64 v37, s[0:1], v29, v37, s[0:1]
	v_mad_u64_u32 v[46:47], s[0:1], s3, v131, v[46:47]
	v_mad_u64_u32 v[50:51], s[0:1], s2, v128, 0
	v_mov_b32_e32 v49, v46
	;; [unrolled: 7-line block ×5, first 2 shown]
	v_add_co_u32_e64 v50, s[0:1], v28, v50
	v_lshlrev_b64 v[52:53], 4, v[54:55]
	v_mov_b32_e32 v54, v77
	v_addc_co_u32_e64 v51, s[0:1], v29, v51, s[0:1]
	v_mad_u64_u32 v[54:55], s[0:1], s3, v78, v[54:55]
	v_add_u32_e32 v55, 0x55, v124
	v_mad_u64_u32 v[78:79], s[0:1], s2, v55, 0
	v_add_co_u32_e64 v80, s[0:1], v28, v52
	v_mov_b32_e32 v77, v54
	v_mov_b32_e32 v54, v79
	v_addc_co_u32_e64 v81, s[0:1], v29, v53, s[0:1]
	v_mad_u64_u32 v[54:55], s[0:1], s3, v55, v[54:55]
	v_add_u32_e32 v55, 0x64, v124
	v_lshlrev_b64 v[52:53], 4, v[76:77]
	v_mad_u64_u32 v[76:77], s[0:1], s2, v55, 0
	v_add_co_u32_e64 v82, s[0:1], v28, v52
	v_mov_b32_e32 v79, v54
	v_mov_b32_e32 v54, v77
	v_addc_co_u32_e64 v83, s[0:1], v29, v53, s[0:1]
	v_mad_u64_u32 v[54:55], s[0:1], s3, v55, v[54:55]
	v_add_u32_e32 v55, 0x73, v124
	v_lshlrev_b64 v[52:53], 4, v[78:79]
	;; [unrolled: 8-line block ×4, first 2 shown]
	v_mad_u64_u32 v[78:79], s[0:1], s2, v55, 0
	v_add_co_u32_e64 v142, s[0:1], v28, v52
	v_mov_b32_e32 v77, v54
	v_mov_b32_e32 v54, v79
	v_addc_co_u32_e64 v143, s[0:1], v29, v53, s[0:1]
	v_mad_u64_u32 v[54:55], s[0:1], s3, v55, v[54:55]
	v_lshlrev_b64 v[52:53], 4, v[76:77]
	v_add_co_u32_e64 v144, s[0:1], v28, v52
	v_mov_b32_e32 v79, v54
	v_addc_co_u32_e64 v145, s[0:1], v29, v53, s[0:1]
	v_lshlrev_b64 v[52:53], 4, v[78:79]
	v_add_co_u32_e64 v28, s[0:1], v28, v52
	v_addc_co_u32_e64 v29, s[0:1], v29, v53, s[0:1]
	global_load_dwordx4 v[116:119], v[30:31], off
	global_load_dwordx4 v[108:111], v[44:45], off
	;; [unrolled: 1-line block ×4, first 2 shown]
                                        ; kill: killed $vgpr30 killed $vgpr31
                                        ; kill: killed $vgpr44 killed $vgpr45
                                        ; kill: killed $vgpr36 killed $vgpr37
                                        ; kill: killed $vgpr38 killed $vgpr39
	global_load_dwordx4 v[92:95], v[46:47], off
	global_load_dwordx4 v[52:55], v[48:49], off
                                        ; kill: killed $vgpr46 killed $vgpr47
                                        ; kill: killed $vgpr48 killed $vgpr49
	global_load_dwordx4 v[84:87], v[50:51], off
	s_nop 0
	global_load_dwordx4 v[48:51], v[80:81], off
	global_load_dwordx4 v[88:91], v[82:83], off
	;; [unrolled: 1-line block ×5, first 2 shown]
	s_nop 0
	global_load_dwordx4 v[80:83], v[144:145], off
	s_nop 0
	global_load_dwordx4 v[28:31], v[28:29], off
	v_mov_b32_e32 v139, v129
	v_mov_b32_e32 v145, v123
	;; [unrolled: 1-line block ×8, first 2 shown]
.LBB0_12:
	s_or_b64 exec, exec, s[4:5]
	s_waitcnt vmcnt(23)
	v_add_f64 v[148:149], v[96:97], v[72:73]
	s_mov_b32 s0, 0xaaaaaaab
	v_mul_hi_u32 v158, v122, s0
	v_add_f64 v[146:147], v[60:61], v[40:41]
	s_waitcnt vmcnt(21)
	v_add_f64 v[150:151], v[62:63], -v[102:103]
	s_mov_b32 s6, 0x134454ff
	v_lshrrev_b32_e32 v160, 3, v158
	v_mul_lo_u32 v162, v160, 12
	v_fma_f64 v[148:149], v[148:149], -0.5, v[40:41]
	v_add_f64 v[160:161], v[100:101], v[60:61]
	s_mov_b32 s7, 0xbfee6f0e
	s_mov_b32 s15, 0x3fee6f0e
	;; [unrolled: 1-line block ×3, first 2 shown]
	v_add_f64 v[152:153], v[74:75], -v[98:99]
	v_add_f64 v[146:147], v[72:73], v[146:147]
	v_add_f64 v[154:155], v[60:61], -v[72:73]
	v_add_f64 v[156:157], v[100:101], -v[96:97]
	v_fma_f64 v[158:159], v[150:151], s[6:7], v[148:149]
	v_fma_f64 v[148:149], v[150:151], s[14:15], v[148:149]
	v_fma_f64 v[40:41], v[160:161], -0.5, v[40:41]
	s_mov_b32 s4, 0x4755a5e
	s_mov_b32 s5, 0xbfe2cf23
	;; [unrolled: 1-line block ×4, first 2 shown]
	v_add_f64 v[146:147], v[96:97], v[146:147]
	v_fma_f64 v[158:159], v[152:153], s[4:5], v[158:159]
	v_add_f64 v[154:155], v[156:157], v[154:155]
	v_fma_f64 v[148:149], v[152:153], s[16:17], v[148:149]
	v_fma_f64 v[160:161], v[152:153], s[14:15], v[40:41]
	s_mov_b32 s10, 0x372fe950
	s_mov_b32 s11, 0x3fd3c6ef
	v_sub_u32_e32 v122, v122, v162
	v_add_f64 v[146:147], v[100:101], v[146:147]
	v_add_f64 v[156:157], v[98:99], v[74:75]
	v_add_f64 v[162:163], v[72:73], -v[60:61]
	v_add_f64 v[164:165], v[96:97], -v[100:101]
	v_fma_f64 v[40:41], v[152:153], s[6:7], v[40:41]
	v_add_f64 v[152:153], v[62:63], v[42:43]
	v_add_f64 v[60:61], v[60:61], -v[100:101]
	v_fma_f64 v[100:101], v[154:155], s[10:11], v[158:159]
	v_fma_f64 v[148:149], v[154:155], s[10:11], v[148:149]
	;; [unrolled: 1-line block ×3, first 2 shown]
	v_add_f64 v[160:161], v[102:103], v[62:63]
	v_fma_f64 v[156:157], v[156:157], -0.5, v[42:43]
	v_add_f64 v[158:159], v[164:165], v[162:163]
	v_fma_f64 v[40:41], v[150:151], s[16:17], v[40:41]
	v_add_f64 v[150:151], v[74:75], v[152:153]
	v_add_f64 v[72:73], v[72:73], -v[96:97]
	v_add_f64 v[96:97], v[62:63], -v[74:75]
	;; [unrolled: 1-line block ×3, first 2 shown]
	v_fma_f64 v[42:43], v[160:161], -0.5, v[42:43]
	v_fma_f64 v[152:153], v[60:61], s[14:15], v[156:157]
	v_fma_f64 v[156:157], v[60:61], s[6:7], v[156:157]
	;; [unrolled: 1-line block ×4, first 2 shown]
	v_add_f64 v[150:151], v[98:99], v[150:151]
	v_add_f64 v[158:159], v[64:65], v[32:33]
	v_add_f64 v[62:63], v[74:75], -v[62:63]
	v_fma_f64 v[160:161], v[72:73], s[6:7], v[42:43]
	v_add_f64 v[74:75], v[98:99], -v[102:103]
	v_fma_f64 v[152:153], v[72:73], s[16:17], v[152:153]
	v_add_f64 v[96:97], v[162:163], v[96:97]
	v_fma_f64 v[156:157], v[72:73], s[4:5], v[156:157]
	v_fma_f64 v[42:43], v[72:73], s[14:15], v[42:43]
	v_add_f64 v[72:73], v[20:21], v[8:9]
	v_fma_f64 v[98:99], v[158:159], -0.5, v[8:9]
	s_waitcnt vmcnt(20)
	v_add_f64 v[158:159], v[22:23], -v[70:71]
	v_add_f64 v[150:151], v[102:103], v[150:151]
	v_fma_f64 v[102:103], v[60:61], s[16:17], v[160:161]
	v_add_f64 v[62:63], v[74:75], v[62:63]
	v_fma_f64 v[152:153], v[96:97], s[10:11], v[152:153]
	v_fma_f64 v[156:157], v[96:97], s[10:11], v[156:157]
	;; [unrolled: 1-line block ×3, first 2 shown]
	v_add_f64 v[60:61], v[32:33], v[72:73]
	v_fma_f64 v[72:73], v[158:159], s[6:7], v[98:99]
	v_add_f64 v[74:75], v[34:35], -v[66:67]
	v_add_f64 v[96:97], v[20:21], -v[32:33]
	;; [unrolled: 1-line block ×3, first 2 shown]
	v_fma_f64 v[162:163], v[62:63], s[10:11], v[102:103]
	v_add_f64 v[102:103], v[68:69], v[20:21]
	v_add_f64 v[164:165], v[66:67], v[34:35]
	v_fma_f64 v[62:63], v[62:63], s[10:11], v[42:43]
	v_add_f64 v[42:43], v[64:65], v[60:61]
	v_fma_f64 v[60:61], v[74:75], s[4:5], v[72:73]
	v_add_f64 v[72:73], v[70:71], v[22:23]
	v_add_f64 v[96:97], v[160:161], v[96:97]
	v_add_f64 v[160:161], v[20:21], -v[68:69]
	v_fma_f64 v[8:9], v[102:103], -0.5, v[8:9]
	v_fma_f64 v[102:103], v[164:165], -0.5, v[10:11]
	v_add_f64 v[164:165], v[32:33], -v[64:65]
	v_add_f64 v[20:21], v[32:33], -v[20:21]
	v_add_f64 v[168:169], v[22:23], -v[34:35]
	v_fma_f64 v[72:73], v[72:73], -0.5, v[10:11]
	v_add_f64 v[170:171], v[70:71], -v[66:67]
	v_add_f64 v[10:11], v[22:23], v[10:11]
	v_fma_f64 v[98:99], v[158:159], s[14:15], v[98:99]
	v_fma_f64 v[32:33], v[160:161], s[14:15], v[102:103]
	v_add_f64 v[42:43], v[68:69], v[42:43]
	v_fma_f64 v[166:167], v[74:75], s[14:15], v[8:9]
	v_add_f64 v[174:175], v[34:35], -v[22:23]
	v_fma_f64 v[172:173], v[164:165], s[6:7], v[72:73]
	v_add_f64 v[176:177], v[66:67], -v[70:71]
	v_add_f64 v[22:23], v[64:65], -v[68:69]
	v_fma_f64 v[8:9], v[74:75], s[6:7], v[8:9]
	v_fma_f64 v[64:65], v[164:165], s[14:15], v[72:73]
	;; [unrolled: 1-line block ×3, first 2 shown]
	v_add_f64 v[68:69], v[170:171], v[168:169]
	v_add_f64 v[10:11], v[34:35], v[10:11]
	v_fma_f64 v[34:35], v[160:161], s[6:7], v[102:103]
	v_fma_f64 v[98:99], v[74:75], s[16:17], v[98:99]
	;; [unrolled: 1-line block ×3, first 2 shown]
	v_add_f64 v[74:75], v[176:177], v[174:175]
	v_fma_f64 v[102:103], v[158:159], s[4:5], v[166:167]
	v_fma_f64 v[64:65], v[160:161], s[4:5], v[64:65]
	v_add_f64 v[20:21], v[22:23], v[20:21]
	v_fma_f64 v[8:9], v[158:159], s[16:17], v[8:9]
	v_fma_f64 v[22:23], v[68:69], s[10:11], v[32:33]
	;; [unrolled: 3-line block ×3, first 2 shown]
	v_fma_f64 v[32:33], v[74:75], s[10:11], v[72:73]
	v_fma_f64 v[66:67], v[74:75], s[10:11], v[64:65]
	;; [unrolled: 1-line block ×4, first 2 shown]
	v_mul_f64 v[20:21], v[22:23], s[4:5]
	v_add_f64 v[158:159], v[70:71], v[10:11]
	v_fma_f64 v[10:11], v[68:69], s[10:11], v[34:35]
	s_mov_b32 s0, 0x9b97f4a8
	s_mov_b32 s1, 0x3fe9e377
	;; [unrolled: 1-line block ×4, first 2 shown]
	v_fma_f64 v[96:97], v[96:97], s[10:11], v[98:99]
	v_mul_f64 v[74:75], v[32:33], s[6:7]
	v_mul_f64 v[34:35], v[66:67], s[6:7]
	v_fma_f64 v[98:99], v[60:61], s[0:1], v[20:21]
	v_mul_f64 v[20:21], v[10:11], s[4:5]
	v_mul_f64 v[10:11], v[10:11], s[20:21]
	s_mov_b32 s19, 0xbfd3c6ef
	s_mov_b32 s18, s10
	v_mul_f64 v[68:69], v[66:67], s[18:19]
	v_fma_f64 v[102:103], v[72:73], s[10:11], v[74:75]
	v_fma_f64 v[160:161], v[8:9], s[18:19], v[34:35]
	v_mul_f64 v[34:35], v[60:61], s[16:17]
	v_fma_f64 v[164:165], v[96:97], s[20:21], v[20:21]
	v_fma_f64 v[170:171], v[96:97], s[16:17], v[10:11]
	s_waitcnt vmcnt(13)
	v_add_f64 v[96:97], v[116:117], v[56:57]
	v_mul_f64 v[60:61], v[72:73], s[14:15]
	v_add_f64 v[66:67], v[100:101], v[98:99]
	v_add_f64 v[72:73], v[154:155], v[102:103]
	v_fma_f64 v[168:169], v[8:9], s[14:15], v[68:69]
	v_fma_f64 v[166:167], v[22:23], s[0:1], v[34:35]
	v_add_f64 v[68:69], v[148:149], v[164:165]
	v_add_f64 v[22:23], v[24:25], v[16:17]
	v_add_f64 v[100:101], v[100:101], -v[98:99]
	v_add_f64 v[102:103], v[154:155], -v[102:103]
	v_fma_f64 v[154:155], v[96:97], -0.5, v[16:17]
	s_waitcnt vmcnt(11)
	v_add_f64 v[172:173], v[26:27], -v[114:115]
	v_add_f64 v[98:99], v[148:149], -v[164:165]
	v_add_f64 v[148:149], v[112:113], v[24:25]
	v_add_f64 v[64:65], v[42:43], v[146:147]
	;; [unrolled: 1-line block ×3, first 2 shown]
	v_fma_f64 v[60:61], v[32:33], s[10:11], v[60:61]
	v_add_f64 v[8:9], v[158:159], v[150:151]
	v_add_f64 v[10:11], v[152:153], v[166:167]
	v_add_f64 v[70:71], v[146:147], -v[42:43]
	v_add_f64 v[146:147], v[56:57], v[22:23]
	v_add_f64 v[96:97], v[40:41], -v[160:161]
	v_add_f64 v[22:23], v[150:151], -v[158:159]
	;; [unrolled: 1-line block ×3, first 2 shown]
	v_fma_f64 v[150:151], v[172:173], s[6:7], v[154:155]
	v_add_f64 v[152:153], v[58:59], -v[118:119]
	v_add_f64 v[158:159], v[24:25], -v[56:57]
	;; [unrolled: 1-line block ×3, first 2 shown]
	v_fma_f64 v[154:155], v[172:173], s[14:15], v[154:155]
	v_fma_f64 v[16:17], v[148:149], -0.5, v[16:17]
	v_add_f64 v[32:33], v[162:163], v[60:61]
	v_add_f64 v[34:35], v[62:63], v[168:169]
	;; [unrolled: 1-line block ×3, first 2 shown]
	v_add_f64 v[42:43], v[162:163], -v[60:61]
	v_add_f64 v[146:147], v[116:117], v[146:147]
	v_add_f64 v[60:61], v[62:63], -v[168:169]
	v_add_f64 v[62:63], v[156:157], -v[170:171]
	v_fma_f64 v[148:149], v[152:153], s[4:5], v[150:151]
	v_add_f64 v[150:151], v[118:119], v[58:59]
	v_add_f64 v[156:157], v[160:161], v[158:159]
	v_fma_f64 v[154:155], v[152:153], s[16:17], v[154:155]
	v_fma_f64 v[158:159], v[152:153], s[14:15], v[16:17]
	v_add_f64 v[146:147], v[112:113], v[146:147]
	v_add_f64 v[160:161], v[56:57], -v[24:25]
	v_add_f64 v[162:163], v[116:117], -v[112:113]
	v_fma_f64 v[16:17], v[152:153], s[6:7], v[16:17]
	v_add_f64 v[152:153], v[26:27], v[18:19]
	v_fma_f64 v[150:151], v[150:151], -0.5, v[18:19]
	v_add_f64 v[24:25], v[24:25], -v[112:113]
	v_fma_f64 v[112:113], v[156:157], s[10:11], v[148:149]
	v_fma_f64 v[148:149], v[156:157], s[10:11], v[154:155]
	;; [unrolled: 1-line block ×3, first 2 shown]
	v_add_f64 v[158:159], v[114:115], v[26:27]
	v_add_f64 v[156:157], v[162:163], v[160:161]
	v_fma_f64 v[16:17], v[172:173], s[16:17], v[16:17]
	v_add_f64 v[152:153], v[58:59], v[152:153]
	v_fma_f64 v[160:161], v[24:25], s[14:15], v[150:151]
	v_add_f64 v[56:57], v[56:57], -v[116:117]
	v_add_f64 v[116:117], v[26:27], -v[58:59]
	;; [unrolled: 1-line block ×3, first 2 shown]
	v_fma_f64 v[18:19], v[158:159], -0.5, v[18:19]
	v_fma_f64 v[150:151], v[24:25], s[6:7], v[150:151]
	v_fma_f64 v[154:155], v[156:157], s[10:11], v[154:155]
	;; [unrolled: 1-line block ×3, first 2 shown]
	v_add_f64 v[16:17], v[118:119], v[152:153]
	v_fma_f64 v[152:153], v[56:57], s[16:17], v[160:161]
	v_add_f64 v[158:159], v[108:109], v[12:13]
	v_add_f64 v[26:27], v[58:59], -v[26:27]
	v_fma_f64 v[160:161], v[56:57], s[6:7], v[18:19]
	v_add_f64 v[58:59], v[118:119], -v[114:115]
	v_add_f64 v[116:117], v[162:163], v[116:117]
	v_fma_f64 v[150:151], v[56:57], s[4:5], v[150:151]
	v_fma_f64 v[18:19], v[56:57], s[14:15], v[18:19]
	v_add_f64 v[56:57], v[4:5], v[0:1]
	v_fma_f64 v[118:119], v[158:159], -0.5, v[0:1]
	s_waitcnt vmcnt(10)
	v_add_f64 v[158:159], v[6:7], -v[106:107]
	v_add_f64 v[114:115], v[114:115], v[16:17]
	v_fma_f64 v[16:17], v[24:25], s[16:17], v[160:161]
	v_add_f64 v[26:27], v[58:59], v[26:27]
	v_fma_f64 v[152:153], v[116:117], s[10:11], v[152:153]
	v_fma_f64 v[150:151], v[116:117], s[10:11], v[150:151]
	;; [unrolled: 1-line block ×3, first 2 shown]
	v_add_f64 v[24:25], v[12:13], v[56:57]
	v_fma_f64 v[56:57], v[158:159], s[6:7], v[118:119]
	v_add_f64 v[58:59], v[14:15], -v[110:111]
	v_add_f64 v[116:117], v[4:5], -v[12:13]
	;; [unrolled: 1-line block ×3, first 2 shown]
	v_fma_f64 v[162:163], v[26:27], s[10:11], v[16:17]
	v_add_f64 v[16:17], v[104:105], v[4:5]
	v_add_f64 v[164:165], v[110:111], v[14:15]
	v_fma_f64 v[166:167], v[26:27], s[10:11], v[18:19]
	v_add_f64 v[18:19], v[108:109], v[24:25]
	v_fma_f64 v[24:25], v[58:59], s[4:5], v[56:57]
	v_add_f64 v[26:27], v[106:107], v[6:7]
	v_add_f64 v[56:57], v[160:161], v[116:117]
	v_fma_f64 v[116:117], v[158:159], s[14:15], v[118:119]
	v_fma_f64 v[0:1], v[16:17], -0.5, v[0:1]
	v_fma_f64 v[16:17], v[164:165], -0.5, v[2:3]
	v_add_f64 v[118:119], v[4:5], -v[104:105]
	v_add_f64 v[160:161], v[12:13], -v[108:109]
	;; [unrolled: 1-line block ×3, first 2 shown]
	v_fma_f64 v[26:27], v[26:27], -0.5, v[2:3]
	v_add_f64 v[168:169], v[6:7], -v[14:15]
	v_add_f64 v[170:171], v[106:107], -v[110:111]
	;; [unrolled: 1-line block ×4, first 2 shown]
	v_fma_f64 v[12:13], v[118:119], s[14:15], v[16:17]
	v_add_f64 v[2:3], v[6:7], v[2:3]
	v_fma_f64 v[16:17], v[118:119], s[6:7], v[16:17]
	v_fma_f64 v[172:173], v[160:161], s[6:7], v[26:27]
	v_add_f64 v[18:19], v[104:105], v[18:19]
	v_fma_f64 v[164:165], v[58:59], s[14:15], v[0:1]
	v_add_f64 v[104:105], v[108:109], -v[104:105]
	v_fma_f64 v[0:1], v[58:59], s[6:7], v[0:1]
	v_fma_f64 v[6:7], v[160:161], s[16:17], v[12:13]
	;; [unrolled: 1-line block ×3, first 2 shown]
	v_add_f64 v[26:27], v[170:171], v[168:169]
	v_fma_f64 v[108:109], v[118:119], s[16:17], v[172:173]
	v_add_f64 v[168:169], v[176:177], v[174:175]
	v_add_f64 v[2:3], v[14:15], v[2:3]
	v_fma_f64 v[16:17], v[160:161], s[4:5], v[16:17]
	v_fma_f64 v[24:25], v[56:57], s[10:11], v[24:25]
	;; [unrolled: 1-line block ×6, first 2 shown]
	v_add_f64 v[4:5], v[104:105], v[4:5]
	v_fma_f64 v[58:59], v[168:169], s[10:11], v[108:109]
	v_fma_f64 v[0:1], v[158:159], s[16:17], v[0:1]
	v_add_f64 v[2:3], v[110:111], v[2:3]
	v_fma_f64 v[16:17], v[26:27], s[10:11], v[16:17]
	v_fma_f64 v[12:13], v[168:169], s[10:11], v[12:13]
	v_mul_f64 v[26:27], v[6:7], s[4:5]
	v_fma_f64 v[56:57], v[56:57], s[10:11], v[116:117]
	v_fma_f64 v[14:15], v[4:5], s[10:11], v[14:15]
	v_mul_f64 v[104:105], v[58:59], s[6:7]
	v_fma_f64 v[108:109], v[4:5], s[10:11], v[0:1]
	v_add_f64 v[110:111], v[106:107], v[2:3]
	v_mul_f64 v[4:5], v[16:17], s[4:5]
	v_mul_f64 v[2:3], v[12:13], s[6:7]
	v_fma_f64 v[26:27], v[24:25], s[0:1], v[26:27]
	v_mul_f64 v[24:25], v[24:25], s[16:17]
	v_mul_f64 v[16:17], v[16:17], s[20:21]
	v_fma_f64 v[116:117], v[14:15], s[10:11], v[104:105]
	v_mul_f64 v[14:15], v[14:15], s[14:15]
	v_add_f64 v[0:1], v[18:19], v[146:147]
	v_mul_f64 v[12:13], v[12:13], s[18:19]
	v_fma_f64 v[118:119], v[108:109], s[18:19], v[2:3]
	v_fma_f64 v[158:159], v[56:57], s[20:21], v[4:5]
	;; [unrolled: 1-line block ×3, first 2 shown]
	s_waitcnt vmcnt(3)
	v_add_f64 v[24:25], v[76:77], v[88:89]
	v_add_f64 v[4:5], v[154:155], v[116:117]
	v_fma_f64 v[164:165], v[58:59], s[10:11], v[14:15]
	v_fma_f64 v[170:171], v[56:57], s[16:17], v[16:17]
	v_add_f64 v[14:15], v[146:147], -v[18:19]
	v_add_f64 v[6:7], v[156:157], v[118:119]
	v_add_f64 v[18:19], v[154:155], -v[116:117]
	v_add_f64 v[116:117], v[84:85], v[92:93]
	v_fma_f64 v[146:147], v[24:25], -0.5, v[92:93]
	s_waitcnt vmcnt(1)
	v_add_f64 v[154:155], v[86:87], -v[82:83]
	v_add_f64 v[24:25], v[156:157], -v[118:119]
	v_add_f64 v[118:119], v[80:81], v[84:85]
	v_add_f64 v[2:3], v[112:113], v[26:27]
	v_fma_f64 v[168:169], v[108:109], s[14:15], v[12:13]
	v_add_f64 v[12:13], v[148:149], v[158:159]
	v_add_f64 v[58:59], v[152:153], v[160:161]
	;; [unrolled: 1-line block ×3, first 2 shown]
	v_add_f64 v[16:17], v[112:113], -v[26:27]
	v_add_f64 v[26:27], v[148:149], -v[158:159]
	;; [unrolled: 1-line block ×3, first 2 shown]
	v_add_f64 v[148:149], v[88:89], v[116:117]
	v_fma_f64 v[152:153], v[154:155], s[6:7], v[146:147]
	v_add_f64 v[156:157], v[90:91], -v[78:79]
	v_add_f64 v[158:159], v[84:85], -v[88:89]
	;; [unrolled: 1-line block ×3, first 2 shown]
	v_fma_f64 v[146:147], v[154:155], s[14:15], v[146:147]
	v_fma_f64 v[92:93], v[118:119], -0.5, v[92:93]
	v_add_f64 v[118:119], v[150:151], -v[170:171]
	v_add_f64 v[150:151], v[78:79], v[90:91]
	v_add_f64 v[56:57], v[110:111], v[114:115]
	;; [unrolled: 1-line block ×4, first 2 shown]
	v_add_f64 v[110:111], v[114:115], -v[110:111]
	v_add_f64 v[114:115], v[162:163], -v[164:165]
	;; [unrolled: 1-line block ×3, first 2 shown]
	v_add_f64 v[148:149], v[76:77], v[148:149]
	v_fma_f64 v[152:153], v[156:157], s[4:5], v[152:153]
	v_add_f64 v[158:159], v[160:161], v[158:159]
	v_fma_f64 v[146:147], v[156:157], s[16:17], v[146:147]
	v_fma_f64 v[160:161], v[156:157], s[14:15], v[92:93]
	v_add_f64 v[162:163], v[88:89], -v[84:85]
	v_add_f64 v[164:165], v[76:77], -v[80:81]
	v_add_f64 v[166:167], v[86:87], v[94:95]
	v_fma_f64 v[150:151], v[150:151], -0.5, v[94:95]
	v_add_f64 v[84:85], v[84:85], -v[80:81]
	v_add_f64 v[80:81], v[80:81], v[148:149]
	v_fma_f64 v[148:149], v[158:159], s[10:11], v[152:153]
	v_fma_f64 v[146:147], v[158:159], s[10:11], v[146:147]
	;; [unrolled: 1-line block ×3, first 2 shown]
	v_add_f64 v[158:159], v[164:165], v[162:163]
	v_fma_f64 v[92:93], v[156:157], s[6:7], v[92:93]
	v_add_f64 v[156:157], v[90:91], v[166:167]
	v_fma_f64 v[160:161], v[84:85], s[14:15], v[150:151]
	v_add_f64 v[76:77], v[88:89], -v[76:77]
	v_add_f64 v[88:89], v[86:87], -v[90:91]
	;; [unrolled: 1-line block ×3, first 2 shown]
	v_fma_f64 v[150:151], v[84:85], s[6:7], v[150:151]
	v_add_f64 v[164:165], v[82:83], v[86:87]
	v_fma_f64 v[92:93], v[154:155], s[16:17], v[92:93]
	v_add_f64 v[154:155], v[78:79], v[156:157]
	v_add_f64 v[156:157], v[36:37], v[44:45]
	v_fma_f64 v[160:161], v[76:77], s[16:17], v[160:161]
	v_fma_f64 v[152:153], v[158:159], s[10:11], v[152:153]
	v_add_f64 v[88:89], v[162:163], v[88:89]
	v_fma_f64 v[150:151], v[76:77], s[4:5], v[150:151]
	v_fma_f64 v[94:95], v[164:165], -0.5, v[94:95]
	v_fma_f64 v[92:93], v[158:159], s[10:11], v[92:93]
	v_add_f64 v[158:159], v[48:49], v[52:53]
	v_fma_f64 v[156:157], v[156:157], -0.5, v[52:53]
	s_waitcnt vmcnt(0)
	v_add_f64 v[162:163], v[50:51], -v[30:31]
	v_add_f64 v[86:87], v[90:91], -v[86:87]
	v_fma_f64 v[160:161], v[88:89], s[10:11], v[160:161]
	v_fma_f64 v[164:165], v[88:89], s[10:11], v[150:151]
	;; [unrolled: 1-line block ×3, first 2 shown]
	v_add_f64 v[78:79], v[78:79], -v[82:83]
	v_add_f64 v[154:155], v[82:83], v[154:155]
	v_fma_f64 v[76:77], v[76:77], s[14:15], v[94:95]
	v_add_f64 v[82:83], v[44:45], v[158:159]
	v_fma_f64 v[90:91], v[162:163], s[6:7], v[156:157]
	v_add_f64 v[94:95], v[46:47], -v[38:39]
	v_add_f64 v[158:159], v[48:49], -v[44:45]
	;; [unrolled: 1-line block ×3, first 2 shown]
	v_fma_f64 v[88:89], v[84:85], s[16:17], v[88:89]
	v_add_f64 v[78:79], v[78:79], v[86:87]
	v_add_f64 v[150:151], v[28:29], v[48:49]
	;; [unrolled: 1-line block ×3, first 2 shown]
	v_fma_f64 v[76:77], v[84:85], s[4:5], v[76:77]
	v_fma_f64 v[84:85], v[94:95], s[4:5], v[90:91]
	v_add_f64 v[170:171], v[30:31], -v[38:39]
	v_add_f64 v[86:87], v[166:167], v[158:159]
	v_add_f64 v[82:83], v[36:37], v[82:83]
	v_fma_f64 v[158:159], v[78:79], s[10:11], v[88:89]
	v_add_f64 v[88:89], v[30:31], v[50:51]
	v_fma_f64 v[52:53], v[150:151], -0.5, v[52:53]
	v_fma_f64 v[90:91], v[168:169], -0.5, v[54:55]
	v_add_f64 v[150:151], v[48:49], -v[28:29]
	v_fma_f64 v[168:169], v[78:79], s[10:11], v[76:77]
	v_fma_f64 v[76:77], v[86:87], s[10:11], v[84:85]
	v_add_f64 v[84:85], v[44:45], -v[36:37]
	v_add_f64 v[44:45], v[44:45], -v[48:49]
	v_fma_f64 v[88:89], v[88:89], -0.5, v[54:55]
	v_add_f64 v[48:49], v[50:51], -v[46:47]
	v_add_f64 v[54:55], v[50:51], v[54:55]
	v_fma_f64 v[78:79], v[150:151], s[14:15], v[90:91]
	v_add_f64 v[50:51], v[46:47], -v[50:51]
	v_add_f64 v[174:175], v[38:39], -v[30:31]
	v_fma_f64 v[90:91], v[150:151], s[6:7], v[90:91]
	v_fma_f64 v[166:167], v[94:95], s[14:15], v[52:53]
	;; [unrolled: 1-line block ×4, first 2 shown]
	v_add_f64 v[48:49], v[170:171], v[48:49]
	v_fma_f64 v[78:79], v[84:85], s[16:17], v[78:79]
	v_add_f64 v[82:83], v[28:29], v[82:83]
	v_add_f64 v[28:29], v[36:37], -v[28:29]
	v_fma_f64 v[36:37], v[94:95], s[6:7], v[52:53]
	v_add_f64 v[46:47], v[46:47], v[54:55]
	v_fma_f64 v[52:53], v[150:151], s[16:17], v[172:173]
	v_add_f64 v[50:51], v[174:175], v[50:51]
	v_fma_f64 v[54:55], v[150:151], s[4:5], v[88:89]
	v_fma_f64 v[156:157], v[162:163], s[14:15], v[156:157]
	;; [unrolled: 1-line block ×5, first 2 shown]
	v_add_f64 v[28:29], v[28:29], v[44:45]
	v_fma_f64 v[36:37], v[162:163], s[16:17], v[36:37]
	v_add_f64 v[38:39], v[38:39], v[46:47]
	v_fma_f64 v[46:47], v[50:51], s[10:11], v[52:53]
	v_fma_f64 v[50:51], v[50:51], s[10:11], v[54:55]
	;; [unrolled: 1-line block ×4, first 2 shown]
	v_mul_f64 v[52:53], v[78:79], s[4:5]
	v_fma_f64 v[54:55], v[28:29], s[10:11], v[166:167]
	v_fma_f64 v[36:37], v[28:29], s[10:11], v[36:37]
	v_add_f64 v[89:90], v[30:31], v[38:39]
	v_mul_f64 v[30:31], v[46:47], s[6:7]
	v_mul_f64 v[38:39], v[50:51], s[6:7]
	v_fma_f64 v[44:45], v[86:87], s[10:11], v[156:157]
	v_mul_f64 v[84:85], v[48:49], s[4:5]
	v_fma_f64 v[86:87], v[76:77], s[0:1], v[52:53]
	v_mul_f64 v[52:53], v[76:77], s[16:17]
	v_mul_f64 v[76:77], v[54:55], s[14:15]
	;; [unrolled: 1-line block ×4, first 2 shown]
	v_fma_f64 v[94:95], v[54:55], s[10:11], v[30:31]
	v_fma_f64 v[150:151], v[36:37], s[18:19], v[38:39]
	;; [unrolled: 1-line block ×3, first 2 shown]
	v_mul_u32_u24_e32 v122, 0x96, v122
	v_add_f64 v[28:29], v[82:83], v[80:81]
	v_add_f64 v[30:31], v[148:149], v[86:87]
	v_fma_f64 v[162:163], v[78:79], s[0:1], v[52:53]
	v_fma_f64 v[166:167], v[46:47], s[10:11], v[76:77]
	;; [unrolled: 1-line block ×4, first 2 shown]
	v_add_f64 v[36:37], v[152:153], v[94:95]
	v_add_f64 v[38:39], v[92:93], v[150:151]
	;; [unrolled: 1-line block ×3, first 2 shown]
	v_add_f64 v[46:47], v[80:81], -v[82:83]
	v_add_f64 v[79:80], v[154:155], -v[89:90]
	v_lshlrev_b32_e32 v90, 3, v122
	v_add_f64 v[44:45], v[146:147], v[156:157]
	v_mul_u32_u24_e32 v89, 10, v124
	v_add_u32_e32 v76, 0, v90
	v_add_f64 v[81:82], v[148:149], -v[86:87]
	v_add_f64 v[83:84], v[152:153], -v[94:95]
	v_lshl_add_u32 v122, v89, 3, v76
	v_add_f64 v[85:86], v[92:93], -v[150:151]
	v_add_f64 v[87:88], v[146:147], -v[156:157]
	ds_write_b128 v122, v[64:67]
	ds_write_b128 v122, v[72:75] offset:16
	ds_write_b128 v122, v[68:71] offset:32
	;; [unrolled: 1-line block ×4, first 2 shown]
	v_mul_i32_i24_e32 v64, 10, v136
	v_lshl_add_u32 v64, v64, 3, v76
	ds_write_b128 v64, v[0:3]
	ds_write_b128 v64, v[4:7] offset:16
	ds_write_b128 v64, v[12:15] offset:32
	ds_write_b128 v64, v[16:19] offset:48
	ds_write_b128 v64, v[24:27] offset:64
	v_mul_i32_i24_e32 v0, 10, v137
	v_lshl_add_u32 v65, v0, 3, v76
	v_lshlrev_b32_e32 v0, 3, v124
	ds_write_b128 v65, v[28:31]
	ds_write_b128 v65, v[36:39] offset:16
	ds_write_b128 v65, v[44:47] offset:32
	;; [unrolled: 1-line block ×4, first 2 shown]
	v_add_u32_e32 v70, v76, v0
	v_add3_u32 v86, 0, v0, v90
	v_lshl_add_u32 v90, v137, 3, v76
	v_lshl_add_u32 v87, v139, 3, v76
	v_lshlrev_b32_e32 v68, 2, v124
	v_mov_b32_e32 v69, 0
	v_add_f64 v[50:51], v[160:161], v[162:163]
	v_add_f64 v[52:53], v[158:159], v[166:167]
	;; [unrolled: 1-line block ×4, first 2 shown]
	v_add_f64 v[146:147], v[160:161], -v[162:163]
	v_add_f64 v[148:149], v[158:159], -v[166:167]
	;; [unrolled: 1-line block ×4, first 2 shown]
	s_waitcnt lgkmcnt(0)
	; wave barrier
	s_waitcnt lgkmcnt(0)
	v_lshl_add_u32 v93, v142, 3, v76
	ds_read2_b64 v[26:29], v86 offset0:60 offset1:65
	ds_read2_b64 v[44:47], v86 offset0:90 offset1:95
	;; [unrolled: 1-line block ×3, first 2 shown]
	v_lshl_add_u32 v71, v136, 3, v76
	v_lshl_add_u32 v89, v143, 3, v76
	ds_read_b64 v[36:37], v70
	ds_read_b64 v[66:67], v93
	;; [unrolled: 1-line block ×4, first 2 shown]
	v_lshl_add_u32 v91, v144, 3, v76
	ds_read2_b64 v[81:84], v86 offset0:70 offset1:75
	ds_read2_b64 v[95:98], v86 offset0:100 offset1:105
	;; [unrolled: 1-line block ×3, first 2 shown]
	v_lshl_add_u32 v92, v138, 3, v76
	v_lshl_add_u32 v94, v145, 3, v76
	ds_read_b64 v[18:19], v90
	ds_read_b64 v[216:217], v91
	;; [unrolled: 1-line block ×4, first 2 shown]
	ds_read2_b64 v[154:157], v86 offset0:80 offset1:85
	ds_read2_b64 v[4:7], v86 offset0:110 offset1:115
	;; [unrolled: 1-line block ×3, first 2 shown]
	v_lshl_add_u32 v88, v140, 3, v76
	ds_read_b64 v[14:15], v87
	ds_read_b64 v[12:13], v88
	ds_read2_b64 v[158:161], v86 offset0:50 offset1:55
	s_waitcnt lgkmcnt(0)
	; wave barrier
	s_waitcnt lgkmcnt(0)
	ds_write_b128 v122, v[8:11]
	ds_write_b128 v122, v[32:35] offset:16
	ds_write_b128 v122, v[20:23] offset:32
	ds_write_b128 v122, v[40:43] offset:48
	ds_write_b128 v122, v[60:63] offset:64
	ds_write_b128 v64, v[56:59]
	ds_write_b128 v64, v[104:107] offset:16
	ds_write_b128 v64, v[108:111] offset:32
	ds_write_b128 v64, v[112:115] offset:48
	ds_write_b128 v64, v[116:119] offset:64
	;; [unrolled: 5-line block ×3, first 2 shown]
	v_lshlrev_b64 v[8:9], 4, v[68:69]
	v_mov_b32_e32 v10, s9
	v_add_co_u32_e64 v8, s[0:1], s8, v8
	v_addc_co_u32_e64 v9, s[0:1], v10, v9, s[0:1]
	s_waitcnt lgkmcnt(0)
	; wave barrier
	s_waitcnt lgkmcnt(0)
	global_load_dwordx4 v[30:33], v[8:9], off
	global_load_dwordx4 v[38:41], v[8:9], off offset:16
	global_load_dwordx4 v[48:51], v[8:9], off offset:48
	;; [unrolled: 1-line block ×3, first 2 shown]
	v_lshlrev_b32_e32 v68, 2, v136
	v_lshlrev_b64 v[8:9], 4, v[68:69]
	v_add_co_u32_e64 v8, s[0:1], s8, v8
	v_addc_co_u32_e64 v9, s[0:1], v10, v9, s[0:1]
	global_load_dwordx4 v[56:59], v[8:9], off
	global_load_dwordx4 v[60:63], v[8:9], off offset:16
	global_load_dwordx4 v[77:80], v[8:9], off offset:32
	;; [unrolled: 1-line block ×3, first 2 shown]
	s_movk_i32 s0, 0xcd
	v_mul_lo_u16_sdwa v8, v139, s0 dst_sel:DWORD dst_unused:UNUSED_PAD src0_sel:BYTE_0 src1_sel:DWORD
	v_lshrrev_b16_e32 v8, 11, v8
	v_mul_lo_u16_e32 v8, 10, v8
	v_sub_u16_e32 v8, v139, v8
	v_and_b32_e32 v64, 0xff, v8
	v_lshlrev_b32_e32 v8, 6, v64
	ds_read2_b64 v[107:110], v86 offset0:60 offset1:65
	ds_read2_b64 v[111:114], v86 offset0:90 offset1:95
	;; [unrolled: 1-line block ×3, first 2 shown]
	ds_read_b64 v[42:43], v70
	ds_read_b64 v[22:23], v93
	;; [unrolled: 1-line block ×4, first 2 shown]
	ds_read2_b64 v[146:149], v86 offset0:70 offset1:75
	ds_read2_b64 v[150:153], v86 offset0:100 offset1:105
	;; [unrolled: 1-line block ×3, first 2 shown]
	global_load_dwordx4 v[166:169], v8, s[8:9] offset:16
	global_load_dwordx4 v[170:173], v8, s[8:9]
	ds_read_b64 v[222:223], v90
	ds_read_b64 v[224:225], v91
	;; [unrolled: 1-line block ×4, first 2 shown]
	ds_read2_b64 v[174:177], v86 offset0:80 offset1:85
	ds_read2_b64 v[178:181], v86 offset0:110 offset1:115
	global_load_dwordx4 v[182:185], v8, s[8:9] offset:48
	global_load_dwordx4 v[186:189], v8, s[8:9] offset:32
	v_mul_lo_u16_sdwa v8, v140, s0 dst_sel:DWORD dst_unused:UNUSED_PAD src0_sel:BYTE_0 src1_sel:DWORD
	v_lshrrev_b16_e32 v8, 11, v8
	v_mul_lo_u16_e32 v8, 10, v8
	v_sub_u16_e32 v8, v140, v8
	v_and_b32_e32 v65, 0xff, v8
	v_lshlrev_b32_e32 v68, 6, v65
	global_load_dwordx4 v[190:193], v68, s[8:9] offset:16
	global_load_dwordx4 v[194:197], v68, s[8:9]
	ds_read2_b64 v[198:201], v86 offset0:140 offset1:145
	ds_read_b64 v[10:11], v87
	ds_read_b64 v[8:9], v88
	ds_read2_b64 v[202:205], v86 offset0:50 offset1:55
	s_waitcnt vmcnt(13) lgkmcnt(14)
	v_mul_f64 v[206:207], v[22:23], v[32:33]
	v_mul_f64 v[208:209], v[66:67], v[32:33]
	s_waitcnt vmcnt(12)
	v_mul_f64 v[210:211], v[107:108], v[40:41]
	v_mul_f64 v[212:213], v[26:27], v[40:41]
	s_waitcnt vmcnt(11)
	v_mul_f64 v[232:233], v[115:116], v[50:51]
	v_mul_f64 v[234:235], v[72:73], v[50:51]
	v_fma_f64 v[66:67], v[66:67], v[30:31], v[206:207]
	v_fma_f64 v[228:229], v[22:23], v[30:31], -v[208:209]
	v_fma_f64 v[230:231], v[26:27], v[38:39], v[210:211]
	v_fma_f64 v[107:108], v[107:108], v[38:39], -v[212:213]
	global_load_dwordx4 v[206:209], v68, s[8:9] offset:48
	global_load_dwordx4 v[210:213], v68, s[8:9] offset:32
	s_waitcnt vmcnt(12)
	v_mul_f64 v[22:23], v[111:112], v[54:55]
	v_mul_f64 v[26:27], v[44:45], v[54:55]
	s_waitcnt vmcnt(11) lgkmcnt(13)
	v_mul_f64 v[236:237], v[34:35], v[58:59]
	v_mul_f64 v[238:239], v[214:215], v[58:59]
	s_waitcnt vmcnt(10)
	v_mul_f64 v[240:241], v[109:110], v[62:63]
	v_fma_f64 v[72:73], v[72:73], v[48:49], v[232:233]
	v_fma_f64 v[115:116], v[115:116], v[48:49], -v[234:235]
	s_waitcnt lgkmcnt(0)
	v_fma_f64 v[44:45], v[44:45], v[52:53], v[22:23]
	v_mul_f64 v[22:23], v[28:29], v[62:63]
	v_fma_f64 v[111:112], v[111:112], v[52:53], -v[26:27]
	s_waitcnt vmcnt(9)
	v_mul_f64 v[26:27], v[113:114], v[79:80]
	v_fma_f64 v[214:215], v[214:215], v[56:57], v[236:237]
	v_fma_f64 v[232:233], v[34:35], v[56:57], -v[238:239]
	v_fma_f64 v[234:235], v[28:29], v[60:61], v[240:241]
	s_waitcnt vmcnt(8)
	v_mul_f64 v[28:29], v[117:118], v[105:106]
	v_mul_f64 v[236:237], v[224:225], v[32:33]
	v_fma_f64 v[109:110], v[109:110], v[60:61], -v[22:23]
	v_mul_f64 v[22:23], v[46:47], v[79:80]
	v_mul_f64 v[32:33], v[216:217], v[32:33]
	;; [unrolled: 1-line block ×3, first 2 shown]
	v_fma_f64 v[240:241], v[46:47], v[77:78], v[26:27]
	v_mul_f64 v[26:27], v[81:82], v[40:41]
	v_mul_f64 v[34:35], v[74:75], v[105:106]
	v_fma_f64 v[74:75], v[74:75], v[103:104], v[28:29]
	v_fma_f64 v[216:217], v[216:217], v[30:31], v[236:237]
	v_fma_f64 v[113:114], v[113:114], v[77:78], -v[22:23]
	v_mul_f64 v[22:23], v[150:151], v[54:55]
	v_fma_f64 v[224:225], v[224:225], v[30:31], -v[32:33]
	v_fma_f64 v[81:82], v[81:82], v[38:39], v[238:239]
	v_fma_f64 v[146:147], v[146:147], v[38:39], -v[26:27]
	v_mul_f64 v[26:27], v[95:96], v[54:55]
	v_mul_f64 v[28:29], v[162:163], v[50:51]
	;; [unrolled: 1-line block ×5, first 2 shown]
	v_fma_f64 v[95:96], v[95:96], v[52:53], v[22:23]
	v_mul_f64 v[22:23], v[83:84], v[62:63]
	v_fma_f64 v[117:118], v[117:118], v[103:104], -v[34:35]
	v_mul_f64 v[34:35], v[218:219], v[58:59]
	v_fma_f64 v[150:151], v[150:151], v[52:53], -v[26:27]
	v_fma_f64 v[99:100], v[99:100], v[48:49], v[28:29]
	v_fma_f64 v[162:163], v[162:163], v[48:49], -v[30:31]
	v_fma_f64 v[218:219], v[218:219], v[56:57], v[32:33]
	v_fma_f64 v[83:84], v[83:84], v[60:61], v[38:39]
	v_mul_f64 v[26:27], v[152:153], v[79:80]
	v_fma_f64 v[148:149], v[148:149], v[60:61], -v[22:23]
	v_mul_f64 v[22:23], v[97:98], v[79:80]
	v_mul_f64 v[28:29], v[164:165], v[105:106]
	;; [unrolled: 1-line block ×3, first 2 shown]
	s_waitcnt vmcnt(6)
	v_mul_f64 v[32:33], v[202:203], v[172:173]
	v_mul_f64 v[38:39], v[174:175], v[168:169]
	;; [unrolled: 1-line block ×3, first 2 shown]
	v_fma_f64 v[226:227], v[226:227], v[56:57], -v[34:35]
	v_mul_f64 v[34:35], v[158:159], v[172:173]
	v_fma_f64 v[79:80], v[97:98], v[77:78], v[26:27]
	v_fma_f64 v[77:78], v[152:153], v[77:78], -v[22:23]
	v_fma_f64 v[97:98], v[101:102], v[103:104], v[28:29]
	v_fma_f64 v[101:102], v[164:165], v[103:104], -v[30:31]
	v_fma_f64 v[58:59], v[158:159], v[170:171], v[32:33]
	v_fma_f64 v[50:51], v[154:155], v[166:167], v[38:39]
	s_waitcnt vmcnt(4)
	v_mul_f64 v[22:23], v[178:179], v[188:189]
	v_fma_f64 v[30:31], v[174:175], v[166:167], -v[40:41]
	v_mul_f64 v[28:29], v[4:5], v[188:189]
	v_mul_f64 v[32:33], v[198:199], v[184:185]
	s_waitcnt vmcnt(2)
	v_mul_f64 v[38:39], v[204:205], v[196:197]
	v_mul_f64 v[40:41], v[160:161], v[196:197]
	v_add_f64 v[48:49], v[230:231], v[44:45]
	v_fma_f64 v[26:27], v[202:203], v[170:171], -v[34:35]
	v_mul_f64 v[34:35], v[0:1], v[184:185]
	v_mul_f64 v[46:47], v[176:177], v[192:193]
	v_fma_f64 v[103:104], v[4:5], v[186:187], v[22:23]
	v_fma_f64 v[60:61], v[178:179], v[186:187], -v[28:29]
	v_fma_f64 v[105:106], v[0:1], v[182:183], v[32:33]
	v_fma_f64 v[22:23], v[160:161], v[194:195], v[38:39]
	v_fma_f64 v[0:1], v[204:205], v[194:195], -v[40:41]
	v_add_f64 v[28:29], v[36:37], v[66:67]
	v_fma_f64 v[38:39], v[48:49], -0.5, v[36:37]
	v_add_f64 v[40:41], v[228:229], -v[115:116]
	v_add_f64 v[54:55], v[66:67], v[72:73]
	v_fma_f64 v[62:63], v[198:199], v[182:183], -v[34:35]
	v_fma_f64 v[4:5], v[156:157], v[190:191], v[46:47]
	v_mul_f64 v[32:33], v[156:157], v[192:193]
	s_waitcnt vmcnt(0)
	v_mul_f64 v[34:35], v[180:181], v[212:213]
	v_mul_f64 v[46:47], v[6:7], v[212:213]
	;; [unrolled: 1-line block ×4, first 2 shown]
	v_add_f64 v[56:57], v[28:29], v[230:231]
	v_fma_f64 v[152:153], v[40:41], s[6:7], v[38:39]
	v_add_f64 v[154:155], v[107:108], -v[111:112]
	v_fma_f64 v[36:37], v[54:55], -0.5, v[36:37]
	v_fma_f64 v[28:29], v[176:177], v[190:191], -v[32:33]
	v_fma_f64 v[32:33], v[6:7], v[210:211], v[34:35]
	v_fma_f64 v[6:7], v[180:181], v[210:211], -v[46:47]
	v_fma_f64 v[34:35], v[2:3], v[206:207], v[48:49]
	v_fma_f64 v[2:3], v[200:201], v[206:207], -v[52:53]
	v_add_f64 v[46:47], v[56:57], v[44:45]
	v_fma_f64 v[48:49], v[154:155], s[4:5], v[152:153]
	v_add_f64 v[52:53], v[66:67], -v[230:231]
	v_add_f64 v[54:55], v[107:108], v[111:112]
	v_add_f64 v[56:57], v[72:73], -v[44:45]
	v_fma_f64 v[38:39], v[40:41], s[14:15], v[38:39]
	v_fma_f64 v[152:153], v[154:155], s[14:15], v[36:37]
	;; [unrolled: 1-line block ×3, first 2 shown]
	v_add_f64 v[156:157], v[230:231], -v[66:67]
	v_add_f64 v[158:159], v[44:45], -v[72:73]
	v_add_f64 v[160:161], v[42:43], v[228:229]
	v_fma_f64 v[164:165], v[54:55], -0.5, v[42:43]
	v_add_f64 v[66:67], v[66:67], -v[72:73]
	v_add_f64 v[52:53], v[52:53], v[56:57]
	v_fma_f64 v[38:39], v[154:155], s[16:17], v[38:39]
	v_fma_f64 v[54:55], v[40:41], s[4:5], v[152:153]
	;; [unrolled: 1-line block ×3, first 2 shown]
	v_add_f64 v[40:41], v[228:229], v[115:116]
	v_add_f64 v[56:57], v[156:157], v[158:159]
	;; [unrolled: 1-line block ×3, first 2 shown]
	v_fma_f64 v[154:155], v[66:67], s[14:15], v[164:165]
	v_add_f64 v[156:157], v[230:231], -v[44:45]
	v_add_f64 v[44:45], v[46:47], v[72:73]
	v_fma_f64 v[46:47], v[52:53], s[10:11], v[38:39]
	v_fma_f64 v[48:49], v[52:53], s[10:11], v[48:49]
	v_fma_f64 v[38:39], v[40:41], -0.5, v[42:43]
	v_fma_f64 v[54:55], v[56:57], s[10:11], v[54:55]
	v_fma_f64 v[56:57], v[56:57], s[10:11], v[36:37]
	v_add_f64 v[36:37], v[152:153], v[111:112]
	v_fma_f64 v[40:41], v[156:157], s[16:17], v[154:155]
	v_add_f64 v[42:43], v[228:229], -v[107:108]
	v_add_f64 v[52:53], v[234:235], v[240:241]
	v_add_f64 v[72:73], v[115:116], -v[111:112]
	v_fma_f64 v[152:153], v[66:67], s[6:7], v[164:165]
	v_fma_f64 v[154:155], v[156:157], s[6:7], v[38:39]
	v_add_f64 v[107:108], v[107:108], -v[228:229]
	v_add_f64 v[111:112], v[111:112], -v[115:116]
	v_fma_f64 v[38:39], v[156:157], s[14:15], v[38:39]
	v_add_f64 v[158:159], v[24:25], v[214:215]
	v_fma_f64 v[160:161], v[52:53], -0.5, v[24:25]
	v_add_f64 v[164:165], v[232:233], -v[117:118]
	v_add_f64 v[42:43], v[42:43], v[72:73]
	v_fma_f64 v[52:53], v[156:157], s[4:5], v[152:153]
	v_fma_f64 v[72:73], v[66:67], s[16:17], v[154:155]
	v_add_f64 v[107:108], v[107:108], v[111:112]
	v_fma_f64 v[66:67], v[66:67], s[4:5], v[38:39]
	v_add_f64 v[111:112], v[214:215], v[74:75]
	v_add_f64 v[152:153], v[158:159], v[234:235]
	v_fma_f64 v[154:155], v[164:165], s[6:7], v[160:161]
	v_add_f64 v[156:157], v[109:110], -v[113:114]
	v_add_f64 v[36:37], v[36:37], v[115:116]
	v_fma_f64 v[40:41], v[42:43], s[10:11], v[40:41]
	v_fma_f64 v[38:39], v[42:43], s[10:11], v[52:53]
	;; [unrolled: 1-line block ×3, first 2 shown]
	v_fma_f64 v[24:25], v[111:112], -0.5, v[24:25]
	v_fma_f64 v[52:53], v[107:108], s[10:11], v[66:67]
	v_add_f64 v[66:67], v[152:153], v[240:241]
	v_add_f64 v[107:108], v[214:215], -v[234:235]
	v_add_f64 v[111:112], v[109:110], v[113:114]
	v_add_f64 v[115:116], v[74:75], -v[240:241]
	v_fma_f64 v[152:153], v[164:165], s[14:15], v[160:161]
	v_fma_f64 v[72:73], v[156:157], s[4:5], v[154:155]
	;; [unrolled: 1-line block ×3, first 2 shown]
	v_add_f64 v[158:159], v[234:235], -v[214:215]
	v_add_f64 v[160:161], v[240:241], -v[74:75]
	v_fma_f64 v[24:25], v[156:157], s[6:7], v[24:25]
	v_add_f64 v[166:167], v[220:221], v[232:233]
	v_fma_f64 v[111:112], v[111:112], -0.5, v[220:221]
	v_add_f64 v[168:169], v[214:215], -v[74:75]
	v_add_f64 v[107:108], v[107:108], v[115:116]
	v_fma_f64 v[115:116], v[156:157], s[16:17], v[152:153]
	v_add_f64 v[156:157], v[232:233], v[117:118]
	v_fma_f64 v[152:153], v[164:165], s[4:5], v[154:155]
	;; [unrolled: 2-line block ×4, first 2 shown]
	v_add_f64 v[164:165], v[234:235], -v[240:241]
	v_add_f64 v[66:67], v[66:67], v[74:75]
	v_fma_f64 v[74:75], v[107:108], s[10:11], v[115:116]
	v_fma_f64 v[115:116], v[156:157], -0.5, v[220:221]
	v_fma_f64 v[72:73], v[107:108], s[10:11], v[72:73]
	v_fma_f64 v[107:108], v[154:155], s[10:11], v[152:153]
	;; [unrolled: 1-line block ×3, first 2 shown]
	v_add_f64 v[152:153], v[158:159], v[113:114]
	v_fma_f64 v[154:155], v[164:165], s[16:17], v[160:161]
	v_add_f64 v[156:157], v[232:233], -v[109:110]
	v_add_f64 v[158:159], v[81:82], v[95:96]
	v_add_f64 v[160:161], v[117:118], -v[113:114]
	v_fma_f64 v[166:167], v[164:165], s[6:7], v[115:116]
	v_add_f64 v[109:110], v[109:110], -v[232:233]
	v_add_f64 v[113:114], v[113:114], -v[117:118]
	v_fma_f64 v[115:116], v[164:165], s[14:15], v[115:116]
	v_fma_f64 v[111:112], v[168:169], s[6:7], v[111:112]
	v_add_f64 v[170:171], v[18:19], v[216:217]
	v_fma_f64 v[158:159], v[158:159], -0.5, v[18:19]
	v_add_f64 v[172:173], v[224:225], -v[162:163]
	v_add_f64 v[156:157], v[156:157], v[160:161]
	v_fma_f64 v[160:161], v[168:169], s[16:17], v[166:167]
	v_add_f64 v[109:110], v[109:110], v[113:114]
	v_fma_f64 v[113:114], v[168:169], s[4:5], v[115:116]
	;; [unrolled: 2-line block ×4, first 2 shown]
	v_add_f64 v[168:169], v[146:147], -v[150:151]
	v_add_f64 v[117:118], v[152:153], v[117:118]
	v_fma_f64 v[152:153], v[156:157], s[10:11], v[154:155]
	v_fma_f64 v[154:155], v[109:110], s[10:11], v[160:161]
	v_fma_f64 v[18:19], v[115:116], -0.5, v[18:19]
	v_fma_f64 v[111:112], v[156:157], s[10:11], v[111:112]
	v_fma_f64 v[109:110], v[109:110], s[10:11], v[113:114]
	v_add_f64 v[113:114], v[164:165], v[95:96]
	v_fma_f64 v[115:116], v[168:169], s[4:5], v[166:167]
	v_add_f64 v[156:157], v[216:217], -v[81:82]
	v_add_f64 v[160:161], v[146:147], v[150:151]
	v_add_f64 v[164:165], v[99:100], -v[95:96]
	v_fma_f64 v[158:159], v[172:173], s[14:15], v[158:159]
	v_fma_f64 v[166:167], v[168:169], s[14:15], v[18:19]
	v_add_f64 v[170:171], v[81:82], -v[216:217]
	v_add_f64 v[174:175], v[95:96], -v[99:100]
	v_fma_f64 v[18:19], v[168:169], s[6:7], v[18:19]
	v_add_f64 v[176:177], v[222:223], v[224:225]
	v_fma_f64 v[160:161], v[160:161], -0.5, v[222:223]
	v_add_f64 v[178:179], v[216:217], -v[99:100]
	v_add_f64 v[156:157], v[156:157], v[164:165]
	v_fma_f64 v[158:159], v[168:169], s[16:17], v[158:159]
	v_fma_f64 v[164:165], v[172:173], s[4:5], v[166:167]
	v_add_f64 v[166:167], v[170:171], v[174:175]
	v_fma_f64 v[18:19], v[172:173], s[16:17], v[18:19]
	v_add_f64 v[168:169], v[224:225], v[162:163]
	v_add_f64 v[170:171], v[176:177], v[146:147]
	v_fma_f64 v[172:173], v[178:179], s[14:15], v[160:161]
	v_add_f64 v[81:82], v[81:82], -v[95:96]
	v_add_f64 v[95:96], v[113:114], v[99:100]
	v_fma_f64 v[99:100], v[156:157], s[10:11], v[115:116]
	v_fma_f64 v[113:114], v[156:157], s[10:11], v[158:159]
	v_fma_f64 v[115:116], v[166:167], s[10:11], v[164:165]
	v_fma_f64 v[156:157], v[168:169], -0.5, v[222:223]
	v_fma_f64 v[18:19], v[166:167], s[10:11], v[18:19]
	v_add_f64 v[158:159], v[170:171], v[150:151]
	v_add_f64 v[166:167], v[224:225], -v[146:147]
	v_add_f64 v[168:169], v[83:84], v[79:80]
	v_add_f64 v[170:171], v[162:163], -v[150:151]
	v_fma_f64 v[164:165], v[81:82], s[16:17], v[172:173]
	v_fma_f64 v[160:161], v[178:179], s[6:7], v[160:161]
	;; [unrolled: 1-line block ×3, first 2 shown]
	v_add_f64 v[146:147], v[146:147], -v[224:225]
	v_add_f64 v[150:151], v[150:151], -v[162:163]
	v_fma_f64 v[156:157], v[81:82], s[14:15], v[156:157]
	v_add_f64 v[174:175], v[16:17], v[218:219]
	v_fma_f64 v[168:169], v[168:169], -0.5, v[16:17]
	v_add_f64 v[176:177], v[226:227], -v[101:102]
	v_add_f64 v[166:167], v[166:167], v[170:171]
	v_add_f64 v[170:171], v[218:219], v[97:98]
	v_fma_f64 v[81:82], v[81:82], s[4:5], v[160:161]
	v_fma_f64 v[160:161], v[178:179], s[16:17], v[172:173]
	v_add_f64 v[146:147], v[146:147], v[150:151]
	v_fma_f64 v[150:151], v[178:179], s[4:5], v[156:157]
	v_add_f64 v[156:157], v[174:175], v[83:84]
	v_fma_f64 v[172:173], v[176:177], s[6:7], v[168:169]
	v_add_f64 v[174:175], v[148:149], -v[77:78]
	v_fma_f64 v[16:17], v[170:171], -0.5, v[16:17]
	v_add_f64 v[158:159], v[158:159], v[162:163]
	v_fma_f64 v[162:163], v[166:167], s[10:11], v[164:165]
	v_fma_f64 v[164:165], v[166:167], s[10:11], v[81:82]
	;; [unrolled: 1-line block ×4, first 2 shown]
	v_add_f64 v[81:82], v[156:157], v[79:80]
	v_fma_f64 v[150:151], v[174:175], s[4:5], v[172:173]
	v_add_f64 v[156:157], v[218:219], -v[83:84]
	v_add_f64 v[166:167], v[20:21], v[226:227]
	v_add_f64 v[170:171], v[148:149], v[77:78]
	v_add_f64 v[172:173], v[97:98], -v[79:80]
	v_fma_f64 v[168:169], v[176:177], s[14:15], v[168:169]
	v_fma_f64 v[178:179], v[174:175], s[14:15], v[16:17]
	v_add_f64 v[180:181], v[83:84], -v[218:219]
	v_add_f64 v[182:183], v[79:80], -v[97:98]
	v_fma_f64 v[16:17], v[174:175], s[6:7], v[16:17]
	v_add_f64 v[166:167], v[166:167], v[148:149]
	v_fma_f64 v[170:171], v[170:171], -0.5, v[20:21]
	v_add_f64 v[184:185], v[218:219], -v[97:98]
	v_add_f64 v[156:157], v[156:157], v[172:173]
	v_fma_f64 v[168:169], v[174:175], s[16:17], v[168:169]
	v_fma_f64 v[172:173], v[176:177], s[4:5], v[178:179]
	v_add_f64 v[174:175], v[180:181], v[182:183]
	v_fma_f64 v[16:17], v[176:177], s[16:17], v[16:17]
	v_add_f64 v[176:177], v[226:227], v[101:102]
	v_add_f64 v[166:167], v[166:167], v[77:78]
	v_fma_f64 v[178:179], v[184:185], s[14:15], v[170:171]
	v_add_f64 v[79:80], v[83:84], -v[79:80]
	v_add_f64 v[81:82], v[81:82], v[97:98]
	v_fma_f64 v[83:84], v[156:157], s[10:11], v[150:151]
	v_fma_f64 v[97:98], v[156:157], s[10:11], v[168:169]
	;; [unrolled: 1-line block ×4, first 2 shown]
	v_fma_f64 v[20:21], v[176:177], -0.5, v[20:21]
	v_add_f64 v[168:169], v[226:227], -v[148:149]
	v_add_f64 v[172:173], v[101:102], -v[77:78]
	v_add_f64 v[174:175], v[14:15], v[58:59]
	v_add_f64 v[156:157], v[166:167], v[101:102]
	v_fma_f64 v[166:167], v[79:80], s[16:17], v[178:179]
	v_fma_f64 v[170:171], v[184:185], s[6:7], v[170:171]
	v_add_f64 v[176:177], v[50:51], v[103:104]
	v_fma_f64 v[178:179], v[79:80], s[6:7], v[20:21]
	v_add_f64 v[148:149], v[148:149], -v[226:227]
	v_add_f64 v[77:78], v[77:78], -v[101:102]
	v_fma_f64 v[20:21], v[79:80], s[14:15], v[20:21]
	v_add_f64 v[101:102], v[168:169], v[172:173]
	v_add_f64 v[168:169], v[174:175], v[50:51]
	v_fma_f64 v[79:80], v[79:80], s[4:5], v[170:171]
	v_fma_f64 v[170:171], v[176:177], -0.5, v[14:15]
	v_add_f64 v[172:173], v[26:27], -v[62:63]
	v_fma_f64 v[174:175], v[184:185], s[16:17], v[178:179]
	v_add_f64 v[77:78], v[148:149], v[77:78]
	v_fma_f64 v[20:21], v[184:185], s[4:5], v[20:21]
	v_add_f64 v[148:149], v[58:59], v[105:106]
	v_add_f64 v[168:169], v[168:169], v[103:104]
	v_fma_f64 v[166:167], v[101:102], s[10:11], v[166:167]
	v_fma_f64 v[101:102], v[101:102], s[10:11], v[79:80]
	;; [unrolled: 1-line block ×3, first 2 shown]
	v_add_f64 v[176:177], v[30:31], -v[60:61]
	v_fma_f64 v[174:175], v[77:78], s[10:11], v[174:175]
	v_fma_f64 v[20:21], v[77:78], s[10:11], v[20:21]
	v_fma_f64 v[14:15], v[148:149], -0.5, v[14:15]
	v_add_f64 v[77:78], v[168:169], v[105:106]
	v_add_f64 v[148:149], v[58:59], -v[50:51]
	v_add_f64 v[168:169], v[105:106], -v[103:104]
	v_fma_f64 v[170:171], v[172:173], s[14:15], v[170:171]
	v_add_f64 v[178:179], v[10:11], v[26:27]
	v_fma_f64 v[79:80], v[176:177], s[4:5], v[79:80]
	v_add_f64 v[180:181], v[30:31], v[60:61]
	v_fma_f64 v[182:183], v[176:177], s[14:15], v[14:15]
	v_add_f64 v[184:185], v[50:51], -v[58:59]
	v_add_f64 v[186:187], v[103:104], -v[105:106]
	v_add_f64 v[148:149], v[148:149], v[168:169]
	v_fma_f64 v[168:169], v[176:177], s[16:17], v[170:171]
	v_add_f64 v[170:171], v[178:179], v[30:31]
	v_fma_f64 v[14:15], v[176:177], s[6:7], v[14:15]
	v_fma_f64 v[176:177], v[180:181], -0.5, v[10:11]
	v_add_f64 v[58:59], v[58:59], -v[105:106]
	v_fma_f64 v[105:106], v[172:173], s[4:5], v[182:183]
	v_add_f64 v[178:179], v[184:185], v[186:187]
	v_fma_f64 v[79:80], v[148:149], s[10:11], v[79:80]
	v_fma_f64 v[148:149], v[148:149], s[10:11], v[168:169]
	v_add_f64 v[168:169], v[170:171], v[60:61]
	v_add_f64 v[170:171], v[26:27], v[62:63]
	v_fma_f64 v[14:15], v[172:173], s[16:17], v[14:15]
	v_fma_f64 v[172:173], v[58:59], s[14:15], v[176:177]
	v_add_f64 v[50:51], v[50:51], -v[103:104]
	v_fma_f64 v[103:104], v[178:179], s[10:11], v[105:106]
	v_add_f64 v[105:106], v[4:5], v[32:33]
	v_add_f64 v[180:181], v[26:27], -v[30:31]
	v_add_f64 v[182:183], v[62:63], -v[60:61]
	v_fma_f64 v[10:11], v[170:171], -0.5, v[10:11]
	v_fma_f64 v[14:15], v[178:179], s[10:11], v[14:15]
	v_add_f64 v[178:179], v[0:1], -v[2:3]
	v_fma_f64 v[170:171], v[50:51], s[16:17], v[172:173]
	v_add_f64 v[172:173], v[12:13], v[22:23]
	v_fma_f64 v[105:106], v[105:106], -0.5, v[12:13]
	v_fma_f64 v[176:177], v[58:59], s[6:7], v[176:177]
	v_add_f64 v[180:181], v[180:181], v[182:183]
	v_fma_f64 v[182:183], v[50:51], s[6:7], v[10:11]
	v_add_f64 v[26:27], v[30:31], -v[26:27]
	v_add_f64 v[30:31], v[60:61], -v[62:63]
	v_fma_f64 v[10:11], v[50:51], s[14:15], v[10:11]
	v_add_f64 v[168:169], v[168:169], v[62:63]
	v_add_f64 v[60:61], v[172:173], v[4:5]
	v_fma_f64 v[62:63], v[178:179], s[6:7], v[105:106]
	v_add_f64 v[172:173], v[28:29], -v[6:7]
	v_add_f64 v[184:185], v[22:23], -v[4:5]
	;; [unrolled: 1-line block ×3, first 2 shown]
	v_fma_f64 v[50:51], v[50:51], s[4:5], v[176:177]
	v_add_f64 v[176:177], v[22:23], v[34:35]
	v_fma_f64 v[182:183], v[58:59], s[16:17], v[182:183]
	v_add_f64 v[26:27], v[26:27], v[30:31]
	;; [unrolled: 2-line block ×4, first 2 shown]
	v_fma_f64 v[170:171], v[180:181], s[10:11], v[170:171]
	v_fma_f64 v[12:13], v[176:177], -0.5, v[12:13]
	v_fma_f64 v[176:177], v[180:181], s[10:11], v[50:51]
	v_fma_f64 v[180:181], v[26:27], s[10:11], v[182:183]
	;; [unrolled: 1-line block ×3, first 2 shown]
	v_add_f64 v[26:27], v[28:29], v[6:7]
	v_fma_f64 v[50:51], v[178:179], s[14:15], v[105:106]
	v_add_f64 v[105:106], v[0:1], v[2:3]
	v_add_f64 v[10:11], v[30:31], v[34:35]
	v_fma_f64 v[30:31], v[60:61], s[10:11], v[58:59]
	v_fma_f64 v[58:59], v[172:173], s[14:15], v[12:13]
	v_add_f64 v[62:63], v[4:5], -v[22:23]
	v_add_f64 v[184:185], v[32:33], -v[34:35]
	v_add_f64 v[186:187], v[8:9], v[0:1]
	v_fma_f64 v[26:27], v[26:27], -0.5, v[8:9]
	v_add_f64 v[22:23], v[22:23], -v[34:35]
	v_add_f64 v[4:5], v[4:5], -v[32:33]
	v_fma_f64 v[8:9], v[105:106], -0.5, v[8:9]
	v_fma_f64 v[12:13], v[172:173], s[6:7], v[12:13]
	v_fma_f64 v[34:35], v[172:173], s[16:17], v[50:51]
	;; [unrolled: 1-line block ×3, first 2 shown]
	v_add_f64 v[32:33], v[62:63], v[184:185]
	v_add_f64 v[58:59], v[186:187], v[28:29]
	v_fma_f64 v[62:63], v[22:23], s[14:15], v[26:27]
	v_add_f64 v[105:106], v[0:1], -v[28:29]
	v_add_f64 v[172:173], v[2:3], -v[6:7]
	v_fma_f64 v[26:27], v[22:23], s[6:7], v[26:27]
	v_fma_f64 v[184:185], v[4:5], s[6:7], v[8:9]
	v_add_f64 v[0:1], v[28:29], -v[0:1]
	v_add_f64 v[28:29], v[6:7], -v[2:3]
	v_fma_f64 v[8:9], v[4:5], s[14:15], v[8:9]
	v_fma_f64 v[12:13], v[178:179], s[16:17], v[12:13]
	v_add_f64 v[6:7], v[58:59], v[6:7]
	v_fma_f64 v[58:59], v[4:5], s[16:17], v[62:63]
	v_add_f64 v[62:63], v[105:106], v[172:173]
	v_fma_f64 v[4:5], v[4:5], s[4:5], v[26:27]
	v_fma_f64 v[26:27], v[22:23], s[16:17], v[184:185]
	v_add_f64 v[0:1], v[0:1], v[28:29]
	v_fma_f64 v[8:9], v[22:23], s[4:5], v[8:9]
	v_fma_f64 v[28:29], v[32:33], s[10:11], v[50:51]
	;; [unrolled: 1-line block ×4, first 2 shown]
	; wave barrier
	ds_write2_b64 v86, v[44:45], v[48:49] offset1:10
	ds_write2_b64 v86, v[54:55], v[56:57] offset0:20 offset1:30
	ds_write_b64 v86, v[46:47] offset:320
	ds_write2_b64 v71, v[66:67], v[72:73] offset1:10
	ds_write2_b64 v71, v[107:108], v[24:25] offset0:20 offset1:30
	ds_write_b64 v71, v[74:75] offset:320
	ds_write2_b64 v86, v[95:96], v[99:100] offset0:50 offset1:60
	ds_write_b64 v86, v[115:116] offset:560
	v_lshl_add_u32 v54, v141, 3, v76
	ds_write_b64 v54, v[18:19]
	ds_write_b64 v86, v[113:114] offset:720
	ds_write2_b64 v71, v[81:82], v[83:84] offset0:50 offset1:60
	ds_write2_b64 v71, v[150:151], v[16:17] offset0:70 offset1:80
	ds_write_b64 v71, v[97:98] offset:720
	v_lshl_add_u32 v16, v64, 3, v76
	v_lshl_add_u32 v17, v65, 3, v76
	v_add_f64 v[105:106], v[6:7], v[2:3]
	v_fma_f64 v[58:59], v[62:63], s[10:11], v[58:59]
	v_fma_f64 v[172:173], v[62:63], s[10:11], v[4:5]
	;; [unrolled: 1-line block ×4, first 2 shown]
	ds_write2_b64 v16, v[77:78], v[79:80] offset0:100 offset1:110
	ds_write2_b64 v16, v[103:104], v[14:15] offset0:120 offset1:130
	ds_write_b64 v16, v[148:149] offset:1120
	ds_write2_b64 v17, v[10:11], v[30:31] offset0:100 offset1:110
	ds_write2_b64 v17, v[28:29], v[12:13] offset0:120 offset1:130
	ds_write_b64 v17, v[22:23] offset:1120
	s_waitcnt lgkmcnt(0)
	; wave barrier
	s_waitcnt lgkmcnt(0)
	ds_read_b64 v[72:73], v70
	ds_read2_b64 v[4:7], v86 offset0:50 offset1:55
	ds_read2_b64 v[8:11], v86 offset0:100 offset1:105
	ds_read_b64 v[76:77], v90
	ds_read2_b64 v[28:31], v86 offset0:60 offset1:65
	ds_read2_b64 v[32:35], v86 offset0:110 offset1:115
	ds_read2_b64 v[44:47], v86 offset0:70 offset1:75
	ds_read2_b64 v[48:51], v86 offset0:120 offset1:125
	ds_read_b64 v[78:79], v87
	ds_read_b64 v[82:83], v88
	;; [unrolled: 1-line block ×5, first 2 shown]
	ds_read2_b64 v[60:63], v86 offset0:80 offset1:85
	ds_read2_b64 v[64:67], v86 offset0:130 offset1:135
	ds_read_b64 v[26:27], v94
	ds_read_b64 v[80:81], v92
	;; [unrolled: 1-line block ×3, first 2 shown]
	ds_read2_b64 v[0:3], v86 offset0:90 offset1:95
	ds_read2_b64 v[12:15], v86 offset0:140 offset1:145
	s_waitcnt lgkmcnt(0)
	; wave barrier
	s_waitcnt lgkmcnt(0)
	ds_write2_b64 v86, v[36:37], v[40:41] offset1:10
	ds_write2_b64 v86, v[42:43], v[52:53] offset0:20 offset1:30
	ds_write_b64 v86, v[38:39] offset:320
	ds_write2_b64 v71, v[117:118], v[152:153] offset1:10
	ds_write2_b64 v71, v[154:155], v[109:110] offset0:20 offset1:30
	ds_write_b64 v71, v[111:112] offset:320
	ds_write2_b64 v86, v[158:159], v[162:163] offset0:50 offset1:60
	ds_write_b64 v86, v[160:161] offset:560
	ds_write_b64 v54, v[146:147]
	ds_write_b64 v86, v[164:165] offset:720
	ds_write2_b64 v71, v[156:157], v[166:167] offset0:50 offset1:60
	ds_write2_b64 v71, v[174:175], v[20:21] offset0:70 offset1:80
	ds_write_b64 v71, v[101:102] offset:720
	ds_write2_b64 v16, v[168:169], v[170:171] offset0:100 offset1:110
	ds_write2_b64 v16, v[180:181], v[182:183] offset0:120 offset1:130
	;; [unrolled: 3-line block ×3, first 2 shown]
	ds_write_b64 v17, v[172:173] offset:1120
	s_waitcnt lgkmcnt(0)
	; wave barrier
	s_waitcnt lgkmcnt(0)
	s_and_saveexec_b64 s[0:1], vcc
	s_cbranch_execz .LBB0_14
; %bb.13:
	v_lshlrev_b32_e32 v68, 1, v145
	v_lshlrev_b64 v[16:17], 4, v[68:69]
	v_mov_b32_e32 v95, s9
	v_add_co_u32_e32 v36, vcc, s8, v16
	v_addc_co_u32_e32 v37, vcc, v95, v17, vcc
	v_lshlrev_b32_e32 v68, 1, v144
	global_load_dwordx4 v[16:19], v[36:37], off offset:656
	global_load_dwordx4 v[20:23], v[36:37], off offset:640
	v_lshlrev_b64 v[36:37], 4, v[68:69]
	v_lshlrev_b32_e32 v68, 1, v143
	v_add_co_u32_e32 v52, vcc, s8, v36
	v_addc_co_u32_e32 v53, vcc, v95, v37, vcc
	global_load_dwordx4 v[36:39], v[52:53], off offset:656
	global_load_dwordx4 v[40:43], v[52:53], off offset:640
	v_lshlrev_b64 v[52:53], 4, v[68:69]
	v_lshlrev_b32_e32 v68, 1, v142
	v_add_co_u32_e32 v58, vcc, s8, v52
	v_addc_co_u32_e32 v59, vcc, v95, v53, vcc
	;; [unrolled: 6-line block ×3, first 2 shown]
	global_load_dwordx4 v[100:103], v[58:59], off offset:640
	global_load_dwordx4 v[104:107], v[58:59], off offset:656
	ds_read2_b64 v[108:111], v86 offset0:90 offset1:95
	ds_read2_b64 v[112:115], v86 offset0:140 offset1:145
	;; [unrolled: 1-line block ×4, first 2 shown]
	ds_read_b64 v[157:158], v93
	ds_read_b64 v[58:59], v94
	;; [unrolled: 1-line block ×7, first 2 shown]
	v_lshlrev_b64 v[89:90], 4, v[68:69]
	v_lshlrev_b32_e32 v68, 1, v139
	v_add_co_u32_e32 v145, vcc, s8, v89
	v_addc_co_u32_e32 v146, vcc, v95, v90, vcc
	global_load_dwordx4 v[89:92], v[145:146], off offset:656
	s_nop 0
	global_load_dwordx4 v[145:148], v[145:146], off offset:640
	v_lshlrev_b64 v[139:140], 4, v[68:69]
	s_mov_b32 s0, 0xe8584caa
	v_add_co_u32_e32 v139, vcc, s8, v139
	v_addc_co_u32_e32 v140, vcc, v95, v140, vcc
	global_load_dwordx4 v[149:152], v[139:140], off offset:656
	global_load_dwordx4 v[153:156], v[139:140], off offset:640
	s_mov_b32 s1, 0xbfebb67a
	s_mov_b32 s5, 0x3febb67a
	;; [unrolled: 1-line block ×3, first 2 shown]
	v_lshlrev_b32_e32 v68, 1, v138
	s_waitcnt vmcnt(11)
	v_mul_f64 v[167:168], v[14:15], v[18:19]
	s_waitcnt vmcnt(10)
	v_mul_f64 v[139:140], v[2:3], v[22:23]
	s_waitcnt lgkmcnt(10)
	v_mul_f64 v[22:23], v[110:111], v[22:23]
	s_waitcnt lgkmcnt(9)
	v_mul_f64 v[18:19], v[114:115], v[18:19]
	s_waitcnt vmcnt(9)
	v_mul_f64 v[171:172], v[12:13], v[38:39]
	s_waitcnt vmcnt(8)
	v_mul_f64 v[169:170], v[0:1], v[42:43]
	v_mul_f64 v[42:43], v[108:109], v[42:43]
	;; [unrolled: 1-line block ×3, first 2 shown]
	v_fma_f64 v[110:111], v[110:111], v[20:21], -v[139:140]
	v_fma_f64 v[114:115], v[114:115], v[16:17], -v[167:168]
	v_fma_f64 v[2:3], v[2:3], v[20:21], v[22:23]
	s_waitcnt vmcnt(7)
	v_mul_f64 v[175:176], v[66:67], v[54:55]
	s_waitcnt vmcnt(6)
	v_mul_f64 v[173:174], v[62:63], v[98:99]
	s_waitcnt lgkmcnt(8)
	v_mul_f64 v[98:99], v[118:119], v[98:99]
	s_waitcnt lgkmcnt(7)
	v_mul_f64 v[54:55], v[143:144], v[54:55]
	v_fma_f64 v[14:15], v[14:15], v[16:17], v[18:19]
	v_fma_f64 v[16:17], v[108:109], v[40:41], -v[169:170]
	v_fma_f64 v[20:21], v[112:113], v[36:37], -v[171:172]
	v_fma_f64 v[0:1], v[0:1], v[40:41], v[42:43]
	v_fma_f64 v[36:37], v[12:13], v[36:37], v[38:39]
	v_fma_f64 v[40:41], v[118:119], v[96:97], -v[173:174]
	v_fma_f64 v[108:109], v[143:144], v[52:53], -v[175:176]
	v_fma_f64 v[62:63], v[62:63], v[96:97], v[98:99]
	v_fma_f64 v[66:67], v[66:67], v[52:53], v[54:55]
	v_add_f64 v[12:13], v[110:111], v[114:115]
	v_add_f64 v[38:39], v[2:3], v[14:15]
	;; [unrolled: 1-line block ×3, first 2 shown]
	v_add_f64 v[22:23], v[2:3], -v[14:15]
	s_waitcnt lgkmcnt(5)
	v_add_f64 v[18:19], v[58:59], v[110:111]
	v_add_f64 v[42:43], v[110:111], -v[114:115]
	v_add_f64 v[2:3], v[26:27], v[2:3]
	v_add_f64 v[54:55], v[0:1], -v[36:37]
	s_waitcnt lgkmcnt(3)
	v_add_f64 v[96:97], v[93:94], v[16:17]
	v_add_f64 v[110:111], v[0:1], v[36:37]
	;; [unrolled: 1-line block ×4, first 2 shown]
	v_fma_f64 v[0:1], v[12:13], -0.5, v[58:59]
	v_add_f64 v[58:59], v[62:63], v[66:67]
	v_fma_f64 v[12:13], v[38:39], -0.5, v[26:27]
	v_fma_f64 v[26:27], v[52:53], -0.5, v[93:94]
	v_add_f64 v[98:99], v[16:17], -v[20:21]
	v_add_f64 v[16:17], v[2:3], v[14:15]
	v_fma_f64 v[24:25], v[110:111], -0.5, v[24:25]
	v_add_f64 v[38:39], v[96:97], v[20:21]
	v_fma_f64 v[2:3], v[22:23], s[0:1], v[0:1]
	v_fma_f64 v[14:15], v[22:23], s[4:5], v[0:1]
	s_waitcnt lgkmcnt(1)
	v_fma_f64 v[52:53], v[118:119], -0.5, v[163:164]
	v_fma_f64 v[22:23], v[54:55], s[0:1], v[26:27]
	v_fma_f64 v[26:27], v[54:55], s[4:5], v[26:27]
	v_add_f64 v[54:55], v[62:63], -v[66:67]
	v_add_f64 v[96:97], v[40:41], -v[108:109]
	v_fma_f64 v[110:111], v[58:59], -0.5, v[56:57]
	v_add_f64 v[93:94], v[163:164], v[40:41]
	s_waitcnt vmcnt(5)
	v_mul_f64 v[177:178], v[60:61], v[102:103]
	s_waitcnt vmcnt(4)
	v_mul_f64 v[179:180], v[64:65], v[106:107]
	v_fma_f64 v[0:1], v[42:43], s[4:5], v[12:13]
	v_fma_f64 v[12:13], v[42:43], s[0:1], v[12:13]
	;; [unrolled: 1-line block ×6, first 2 shown]
	v_lshlrev_b64 v[96:97], 4, v[68:69]
	v_add_f64 v[58:59], v[93:94], v[108:109]
	v_mul_f64 v[93:94], v[116:117], v[102:103]
	v_mul_f64 v[102:103], v[141:142], v[106:107]
	v_add_co_u32_e32 v106, vcc, s8, v96
	v_add_f64 v[18:19], v[18:19], v[114:115]
	v_fma_f64 v[114:115], v[116:117], v[100:101], -v[177:178]
	v_fma_f64 v[118:119], v[141:142], v[104:105], -v[179:180]
	v_addc_co_u32_e32 v107, vcc, v95, v97, vcc
	v_fma_f64 v[20:21], v[98:99], s[4:5], v[24:25]
	v_fma_f64 v[24:25], v[98:99], s[0:1], v[24:25]
	global_load_dwordx4 v[96:99], v[106:107], off offset:656
	s_nop 0
	global_load_dwordx4 v[106:109], v[106:107], off offset:640
	v_add_f64 v[56:57], v[56:57], v[62:63]
	v_lshlrev_b32_e32 v68, 1, v137
	v_add_f64 v[62:63], v[114:115], v[118:119]
	v_fma_f64 v[93:94], v[60:61], v[100:101], v[93:94]
	v_lshlrev_b64 v[60:61], 4, v[68:69]
	s_waitcnt vmcnt(4)
	v_mul_f64 v[141:142], v[46:47], v[147:148]
	v_add_co_u32_e32 v60, vcc, s8, v60
	v_addc_co_u32_e32 v61, vcc, v95, v61, vcc
	v_add_f64 v[36:37], v[112:113], v[36:37]
	v_add_f64 v[56:57], v[56:57], v[66:67]
	ds_read_b64 v[163:164], v70
	v_fma_f64 v[66:67], v[62:63], -0.5, v[157:158]
	v_fma_f64 v[104:105], v[64:65], v[104:105], v[102:103]
	global_load_dwordx4 v[100:103], v[60:61], off offset:656
	global_load_dwordx4 v[110:113], v[60:61], off offset:640
	v_add_f64 v[70:71], v[157:158], v[114:115]
	v_add_f64 v[157:158], v[114:115], -v[118:119]
	ds_read2_b64 v[114:117], v86 offset0:70 offset1:75
	ds_read2_b64 v[137:140], v86 offset0:120 offset1:125
	v_mul_f64 v[143:144], v[50:51], v[91:92]
	v_lshlrev_b32_e32 v68, 1, v136
	s_waitcnt lgkmcnt(1)
	v_fma_f64 v[141:142], v[116:117], v[145:146], -v[141:142]
	v_mul_f64 v[116:117], v[116:117], v[147:148]
	s_waitcnt lgkmcnt(0)
	v_mul_f64 v[91:92], v[139:140], v[91:92]
	v_add_f64 v[60:61], v[93:94], v[104:105]
	ds_read_b64 v[147:148], v88
	v_fma_f64 v[143:144], v[139:140], v[89:90], -v[143:144]
	v_add_f64 v[64:65], v[93:94], -v[104:105]
	v_add_f64 v[70:71], v[70:71], v[118:119]
	v_fma_f64 v[46:47], v[46:47], v[145:146], v[116:117]
	v_fma_f64 v[145:146], v[50:51], v[89:90], v[91:92]
	v_lshlrev_b64 v[88:89], 4, v[68:69]
	v_fma_f64 v[167:168], v[60:61], -0.5, v[84:85]
	v_add_co_u32_e32 v116, vcc, s8, v88
	v_addc_co_u32_e32 v117, vcc, v95, v89, vcc
	v_add_f64 v[84:85], v[84:85], v[93:94]
	s_waitcnt vmcnt(4)
	v_mul_f64 v[50:51], v[44:45], v[155:156]
	v_mul_f64 v[92:93], v[48:49], v[151:152]
	global_load_dwordx4 v[88:91], v[116:117], off offset:656
	s_nop 0
	global_load_dwordx4 v[116:119], v[116:117], off offset:640
	v_lshlrev_b32_e32 v68, 1, v124
	v_lshlrev_b64 v[68:69], 4, v[68:69]
	v_fma_f64 v[62:63], v[64:65], s[0:1], v[66:67]
	v_add_co_u32_e32 v68, vcc, s8, v68
	v_addc_co_u32_e32 v69, vcc, v95, v69, vcc
	v_fma_f64 v[66:67], v[64:65], s[4:5], v[66:67]
	v_fma_f64 v[60:61], v[157:158], s[4:5], v[167:168]
	;; [unrolled: 1-line block ×3, first 2 shown]
	v_fma_f64 v[167:168], v[114:115], v[153:154], -v[50:51]
	v_fma_f64 v[169:170], v[137:138], v[149:150], -v[92:93]
	v_mul_f64 v[50:51], v[114:115], v[155:156]
	v_mul_f64 v[114:115], v[137:138], v[151:152]
	global_load_dwordx4 v[92:95], v[68:69], off offset:656
	global_load_dwordx4 v[136:139], v[68:69], off offset:640
	v_add_f64 v[157:158], v[141:142], v[143:144]
	v_add_f64 v[68:69], v[46:47], v[145:146]
	ds_read_b64 v[151:152], v87
	v_add_f64 v[171:172], v[167:168], v[169:170]
	v_fma_f64 v[153:154], v[44:45], v[153:154], v[50:51]
	v_fma_f64 v[114:115], v[48:49], v[149:150], v[114:115]
	s_waitcnt lgkmcnt(1)
	v_add_f64 v[44:45], v[147:148], v[141:142]
	v_fma_f64 v[155:156], v[157:158], -0.5, v[147:148]
	v_add_f64 v[157:158], v[46:47], -v[145:146]
	v_add_f64 v[48:49], v[141:142], -v[143:144]
	v_fma_f64 v[140:141], v[68:69], -0.5, v[82:83]
	v_add_f64 v[82:83], v[82:83], v[46:47]
	v_add_f64 v[68:69], v[84:85], v[104:105]
	s_waitcnt lgkmcnt(0)
	v_fma_f64 v[104:105], v[171:172], -0.5, v[151:152]
	v_add_f64 v[84:85], v[44:45], v[143:144]
	v_add_f64 v[173:174], v[151:152], v[167:168]
	v_fma_f64 v[46:47], v[157:158], s[0:1], v[155:156]
	v_fma_f64 v[50:51], v[157:158], s[4:5], v[155:156]
	ds_read2_b64 v[148:151], v86 offset0:110 offset1:115
	v_add_f64 v[82:83], v[82:83], v[145:146]
	s_waitcnt vmcnt(6)
	v_mul_f64 v[155:156], v[30:31], v[108:109]
	ds_read2_b64 v[144:147], v86 offset0:60 offset1:65
	v_mul_f64 v[157:158], v[34:35], v[98:99]
	v_add_f64 v[171:172], v[153:154], -v[114:115]
	v_fma_f64 v[44:45], v[48:49], s[4:5], v[140:141]
	v_fma_f64 v[48:49], v[48:49], s[0:1], v[140:141]
	v_add_f64 v[140:141], v[153:154], v[114:115]
	s_waitcnt lgkmcnt(0)
	v_mul_f64 v[108:109], v[146:147], v[108:109]
	v_fma_f64 v[155:156], v[146:147], v[106:107], -v[155:156]
	v_mul_f64 v[146:147], v[150:151], v[98:99]
	v_fma_f64 v[150:151], v[150:151], v[96:97], -v[157:158]
	v_fma_f64 v[142:143], v[171:172], s[0:1], v[104:105]
	v_add_f64 v[167:168], v[167:168], -v[169:170]
	v_fma_f64 v[98:99], v[171:172], s[4:5], v[104:105]
	v_fma_f64 v[175:176], v[140:141], -0.5, v[78:79]
	s_waitcnt vmcnt(5)
	v_mul_f64 v[171:172], v[32:33], v[102:103]
	s_waitcnt vmcnt(4)
	v_mul_f64 v[157:158], v[28:29], v[112:113]
	v_fma_f64 v[30:31], v[30:31], v[106:107], v[108:109]
	v_fma_f64 v[106:107], v[34:35], v[96:97], v[146:147]
	v_add_f64 v[34:35], v[155:156], v[150:151]
	v_mul_f64 v[108:109], v[144:145], v[112:113]
	v_mul_f64 v[102:103], v[148:149], v[102:103]
	v_fma_f64 v[140:141], v[167:168], s[4:5], v[175:176]
	v_fma_f64 v[96:97], v[167:168], s[0:1], v[175:176]
	v_fma_f64 v[157:158], v[144:145], v[110:111], -v[157:158]
	v_fma_f64 v[167:168], v[148:149], v[100:101], -v[171:172]
	v_add_f64 v[78:79], v[78:79], v[153:154]
	v_add_f64 v[112:113], v[30:31], v[106:107]
	v_add_f64 v[146:147], v[159:160], v[155:156]
	v_fma_f64 v[34:35], v[34:35], -0.5, v[159:160]
	v_add_f64 v[144:145], v[30:31], -v[106:107]
	v_fma_f64 v[152:153], v[28:29], v[110:111], v[108:109]
	v_fma_f64 v[100:101], v[32:33], v[100:101], v[102:103]
	v_add_f64 v[148:149], v[157:158], v[167:168]
	v_add_f64 v[32:33], v[155:156], -v[150:151]
	v_fma_f64 v[108:109], v[112:113], -0.5, v[80:81]
	v_add_f64 v[102:103], v[78:79], v[114:115]
	v_add_f64 v[78:79], v[80:81], v[30:31]
	;; [unrolled: 1-line block ×3, first 2 shown]
	v_fma_f64 v[30:31], v[144:145], s[0:1], v[34:35]
	v_fma_f64 v[34:35], v[144:145], s[4:5], v[34:35]
	ds_read2_b64 v[110:113], v86 offset0:50 offset1:55
	ds_read2_b64 v[144:147], v86 offset0:100 offset1:105
	s_waitcnt vmcnt(3)
	v_mul_f64 v[154:155], v[10:11], v[90:91]
	s_waitcnt vmcnt(2)
	v_mul_f64 v[150:151], v[6:7], v[118:119]
	v_fma_f64 v[114:115], v[148:149], -0.5, v[161:162]
	v_add_f64 v[148:149], v[152:153], -v[100:101]
	v_add_f64 v[86:87], v[161:162], v[157:158]
	s_waitcnt lgkmcnt(1)
	v_mul_f64 v[118:119], v[112:113], v[118:119]
	v_add_f64 v[104:105], v[173:174], v[169:170]
	v_fma_f64 v[28:29], v[32:33], s[4:5], v[108:109]
	s_waitcnt lgkmcnt(0)
	v_fma_f64 v[154:155], v[146:147], v[88:89], -v[154:155]
	v_fma_f64 v[150:151], v[112:113], v[116:117], -v[150:151]
	v_mul_f64 v[146:147], v[146:147], v[90:91]
	v_fma_f64 v[32:33], v[32:33], s[0:1], v[108:109]
	v_add_f64 v[78:79], v[78:79], v[106:107]
	v_add_f64 v[106:107], v[152:153], v[100:101]
	v_fma_f64 v[108:109], v[148:149], s[0:1], v[114:115]
	s_waitcnt vmcnt(1)
	v_mul_f64 v[169:170], v[8:9], v[94:95]
	s_waitcnt vmcnt(0)
	v_mul_f64 v[160:161], v[4:5], v[138:139]
	v_fma_f64 v[90:91], v[148:149], s[4:5], v[114:115]
	v_add_f64 v[112:113], v[86:87], v[167:168]
	v_add_f64 v[86:87], v[150:151], v[154:155]
	v_fma_f64 v[6:7], v[6:7], v[116:117], v[118:119]
	v_fma_f64 v[10:11], v[10:11], v[88:89], v[146:147]
	v_mul_f64 v[94:95], v[144:145], v[94:95]
	v_fma_f64 v[118:119], v[144:145], v[92:93], -v[169:170]
	v_fma_f64 v[114:115], v[110:111], v[136:137], -v[160:161]
	v_mul_f64 v[110:111], v[110:111], v[138:139]
	v_add_f64 v[156:157], v[157:158], -v[167:168]
	v_fma_f64 v[158:159], v[106:107], -0.5, v[76:77]
	v_add_f64 v[76:77], v[76:77], v[152:153]
	v_fma_f64 v[86:87], v[86:87], -0.5, v[165:166]
	v_add_f64 v[116:117], v[6:7], v[10:11]
	v_add_f64 v[138:139], v[6:7], -v[10:11]
	v_fma_f64 v[148:149], v[8:9], v[92:93], v[94:95]
	v_fma_f64 v[4:5], v[4:5], v[136:137], v[110:111]
	v_add_f64 v[144:145], v[114:115], v[118:119]
	v_add_f64 v[92:93], v[165:166], v[150:151]
	v_add_f64 v[136:137], v[74:75], v[6:7]
	v_add_f64 v[110:111], v[76:77], v[100:101]
	v_add_f64 v[100:101], v[150:151], -v[154:155]
	v_fma_f64 v[116:117], v[116:117], -0.5, v[74:75]
	v_fma_f64 v[8:9], v[138:139], s[0:1], v[86:87]
	v_fma_f64 v[76:77], v[138:139], s[4:5], v[86:87]
	v_add_f64 v[86:87], v[4:5], v[148:149]
	v_fma_f64 v[144:145], v[144:145], -0.5, v[163:164]
	v_add_f64 v[146:147], v[4:5], -v[148:149]
	v_add_f64 v[94:95], v[92:93], v[154:155]
	v_add_f64 v[92:93], v[136:137], v[10:11]
	;; [unrolled: 1-line block ×3, first 2 shown]
	v_mad_u64_u32 v[150:151], s[6:7], s2, v124, 0
	v_fma_f64 v[6:7], v[100:101], s[4:5], v[116:117]
	v_fma_f64 v[74:75], v[100:101], s[0:1], v[116:117]
	v_add_f64 v[100:101], v[114:115], -v[118:119]
	v_fma_f64 v[86:87], v[86:87], -0.5, v[72:73]
	v_add_f64 v[4:5], v[72:73], v[4:5]
	v_fma_f64 v[116:117], v[146:147], s[0:1], v[144:145]
	v_fma_f64 v[138:139], v[146:147], s[4:5], v[144:145]
	v_add_f64 v[146:147], v[10:11], v[118:119]
	v_mov_b32_e32 v10, v151
	v_mad_u64_u32 v[10:11], s[6:7], s3, v124, v[10:11]
	v_fma_f64 v[88:89], v[156:157], s[0:1], v[158:159]
	v_fma_f64 v[136:137], v[100:101], s[0:1], v[86:87]
	v_mov_b32_e32 v151, v10
	v_mad_u64_u32 v[10:11], s[0:1], s2, v134, 0
	v_add_f64 v[144:145], v[4:5], v[148:149]
	v_fma_f64 v[114:115], v[100:101], s[4:5], v[86:87]
	v_mad_u64_u32 v[86:87], s[0:1], s3, v134, v[11:12]
	v_mov_b32_e32 v5, s13
	v_add_co_u32_e32 v4, vcc, s12, v120
	v_lshlrev_b64 v[72:73], 4, v[150:151]
	v_addc_co_u32_e32 v5, vcc, v5, v121, vcc
	v_add_co_u32_e32 v72, vcc, v4, v72
	v_addc_co_u32_e32 v73, vcc, v5, v73, vcc
	v_mov_b32_e32 v11, v86
	v_add_u32_e32 v86, 0x64, v124
	global_store_dwordx4 v[72:73], v[144:147], off
	v_lshlrev_b64 v[10:11], 4, v[10:11]
	v_mad_u64_u32 v[72:73], s[0:1], s2, v86, 0
	v_add_co_u32_e32 v10, vcc, v4, v10
	v_addc_co_u32_e32 v11, vcc, v5, v11, vcc
	global_store_dwordx4 v[10:11], v[136:139], off
	v_mov_b32_e32 v10, v73
	v_mad_u64_u32 v[10:11], s[0:1], s3, v86, v[10:11]
	v_mad_u64_u32 v[86:87], s[0:1], s2, v133, 0
	v_mov_b32_e32 v73, v10
	v_lshlrev_b64 v[10:11], 4, v[72:73]
	v_mov_b32_e32 v72, v87
	v_fma_f64 v[106:107], v[156:157], s[4:5], v[158:159]
	v_mad_u64_u32 v[72:73], s[4:5], s3, v133, v[72:73]
	v_add_co_u32_e32 v10, vcc, v4, v10
	v_mov_b32_e32 v87, v72
	v_mad_u64_u32 v[72:73], s[4:5], s2, v135, 0
	v_addc_co_u32_e32 v11, vcc, v5, v11, vcc
	global_store_dwordx4 v[10:11], v[114:117], off
	v_lshlrev_b64 v[10:11], 4, v[86:87]
	v_mad_u64_u32 v[86:87], s[4:5], s3, v135, v[73:74]
	v_add_u32_e32 v87, 0x69, v124
	v_mad_u64_u32 v[100:101], s[4:5], s2, v87, 0
	v_add_co_u32_e32 v10, vcc, v4, v10
	v_addc_co_u32_e32 v11, vcc, v5, v11, vcc
	v_mov_b32_e32 v73, v86
	global_store_dwordx4 v[10:11], v[92:95], off
	v_lshlrev_b64 v[10:11], 4, v[72:73]
	v_mov_b32_e32 v72, v101
	v_mad_u64_u32 v[72:73], s[4:5], s3, v87, v[72:73]
	v_add_co_u32_e32 v10, vcc, v4, v10
	v_mov_b32_e32 v101, v72
	v_mad_u64_u32 v[72:73], s[4:5], s2, v131, 0
	v_addc_co_u32_e32 v11, vcc, v5, v11, vcc
	global_store_dwordx4 v[10:11], v[74:77], off
	v_lshlrev_b64 v[10:11], 4, v[100:101]
	v_mad_u64_u32 v[73:74], s[4:5], s3, v131, v[73:74]
	v_mad_u64_u32 v[74:75], s[4:5], s2, v132, 0
	v_add_co_u32_e32 v10, vcc, v4, v10
	v_addc_co_u32_e32 v11, vcc, v5, v11, vcc
	global_store_dwordx4 v[10:11], v[6:9], off
	v_add_u32_e32 v10, 0x6e, v124
	v_mov_b32_e32 v8, v75
	v_mad_u64_u32 v[8:9], s[4:5], s3, v132, v[8:9]
	v_lshlrev_b64 v[6:7], 4, v[72:73]
	v_add_u32_e32 v72, 0x73, v124
	v_mov_b32_e32 v75, v8
	v_mad_u64_u32 v[8:9], s[4:5], s2, v10, 0
	v_add_co_u32_e32 v6, vcc, v4, v6
	v_addc_co_u32_e32 v7, vcc, v5, v7, vcc
	v_mad_u64_u32 v[9:10], s[4:5], s3, v10, v[9:10]
	global_store_dwordx4 v[6:7], v[110:113], off
	v_lshlrev_b64 v[6:7], 4, v[74:75]
	v_mad_u64_u32 v[10:11], s[4:5], s2, v130, 0
	v_add_co_u32_e32 v6, vcc, v4, v6
	v_addc_co_u32_e32 v7, vcc, v5, v7, vcc
	global_store_dwordx4 v[6:7], v[88:91], off
	v_lshlrev_b64 v[6:7], 4, v[8:9]
	v_mov_b32_e32 v8, v11
	v_mad_u64_u32 v[8:9], s[4:5], s3, v130, v[8:9]
	v_add_co_u32_e32 v6, vcc, v4, v6
	v_addc_co_u32_e32 v7, vcc, v5, v7, vcc
	v_mov_b32_e32 v11, v8
	global_store_dwordx4 v[6:7], v[106:109], off
	v_lshlrev_b64 v[6:7], 4, v[10:11]
	v_add_u32_e32 v10, 0x41, v124
	v_mad_u64_u32 v[8:9], s[4:5], s2, v10, 0
	v_add_co_u32_e32 v6, vcc, v4, v6
	v_mad_u64_u32 v[9:10], s[4:5], s3, v10, v[9:10]
	v_mad_u64_u32 v[10:11], s[4:5], s2, v72, 0
	v_addc_co_u32_e32 v7, vcc, v5, v7, vcc
	global_store_dwordx4 v[6:7], v[78:81], off
	v_lshlrev_b64 v[6:7], 4, v[8:9]
	v_mov_b32_e32 v8, v11
	v_mad_u64_u32 v[8:9], s[4:5], s3, v72, v[8:9]
	v_add_co_u32_e32 v6, vcc, v4, v6
	v_mov_b32_e32 v11, v8
	v_mad_u64_u32 v[8:9], s[4:5], s2, v129, 0
	v_addc_co_u32_e32 v7, vcc, v5, v7, vcc
	global_store_dwordx4 v[6:7], v[32:35], off
	v_lshlrev_b64 v[6:7], 4, v[10:11]
	v_mad_u64_u32 v[9:10], s[4:5], s3, v129, v[9:10]
	v_add_u32_e32 v32, 0x46, v124
	v_mad_u64_u32 v[10:11], s[4:5], s2, v32, 0
	v_add_co_u32_e32 v6, vcc, v4, v6
	v_addc_co_u32_e32 v7, vcc, v5, v7, vcc
	global_store_dwordx4 v[6:7], v[28:31], off
	v_lshlrev_b64 v[6:7], 4, v[8:9]
	v_mov_b32_e32 v8, v11
	v_mad_u64_u32 v[8:9], s[4:5], s3, v32, v[8:9]
	v_add_co_u32_e32 v6, vcc, v4, v6
	v_addc_co_u32_e32 v7, vcc, v5, v7, vcc
	v_mov_b32_e32 v11, v8
	global_store_dwordx4 v[6:7], v[102:105], off
	v_lshlrev_b64 v[6:7], 4, v[10:11]
	v_or_b32_e32 v10, 0x78, v124
	v_mad_u64_u32 v[8:9], s[4:5], s2, v10, 0
	s_mov_b32 s1, 0x51eb851f
	v_mul_hi_u32 v11, v128, s1
	v_mad_u64_u32 v[9:10], s[4:5], s3, v10, v[9:10]
	s_movk_i32 s0, 0x64
	v_lshrrev_b32_e32 v10, 4, v11
	v_mad_u32_u24 v28, v10, s0, v128
	v_mad_u64_u32 v[10:11], s[4:5], s2, v28, 0
	v_add_co_u32_e32 v6, vcc, v4, v6
	v_addc_co_u32_e32 v7, vcc, v5, v7, vcc
	global_store_dwordx4 v[6:7], v[96:99], off
	v_lshlrev_b64 v[6:7], 4, v[8:9]
	v_mov_b32_e32 v8, v11
	v_mad_u64_u32 v[8:9], s[4:5], s3, v28, v[8:9]
	v_add_co_u32_e32 v6, vcc, v4, v6
	v_addc_co_u32_e32 v7, vcc, v5, v7, vcc
	v_mov_b32_e32 v11, v8
	global_store_dwordx4 v[6:7], v[140:143], off
	v_lshlrev_b64 v[6:7], 4, v[10:11]
	v_add_u32_e32 v10, 50, v28
	v_mad_u64_u32 v[8:9], s[4:5], s2, v10, 0
	v_add_u32_e32 v28, 0x64, v28
	v_add_co_u32_e32 v6, vcc, v4, v6
	v_mad_u64_u32 v[9:10], s[4:5], s3, v10, v[9:10]
	v_mad_u64_u32 v[10:11], s[4:5], s2, v28, 0
	v_addc_co_u32_e32 v7, vcc, v5, v7, vcc
	global_store_dwordx4 v[6:7], v[82:85], off
	v_lshlrev_b64 v[6:7], 4, v[8:9]
	v_mov_b32_e32 v8, v11
	v_mad_u64_u32 v[8:9], s[4:5], s3, v28, v[8:9]
	v_mul_hi_u32 v9, v127, s1
	v_add_co_u32_e32 v6, vcc, v4, v6
	v_mov_b32_e32 v11, v8
	v_lshrrev_b32_e32 v8, 4, v9
	v_mad_u32_u24 v28, v8, s0, v127
	v_mad_u64_u32 v[8:9], s[4:5], s2, v28, 0
	v_addc_co_u32_e32 v7, vcc, v5, v7, vcc
	global_store_dwordx4 v[6:7], v[48:51], off
	v_lshlrev_b64 v[6:7], 4, v[10:11]
	v_mad_u64_u32 v[9:10], s[4:5], s3, v28, v[9:10]
	v_add_u32_e32 v29, 50, v28
	v_mad_u64_u32 v[10:11], s[4:5], s2, v29, 0
	v_add_co_u32_e32 v6, vcc, v4, v6
	v_addc_co_u32_e32 v7, vcc, v5, v7, vcc
	global_store_dwordx4 v[6:7], v[44:47], off
	v_lshlrev_b64 v[6:7], 4, v[8:9]
	v_mov_b32_e32 v8, v11
	v_mad_u64_u32 v[8:9], s[4:5], s3, v29, v[8:9]
	v_add_co_u32_e32 v6, vcc, v4, v6
	v_addc_co_u32_e32 v7, vcc, v5, v7, vcc
	v_mov_b32_e32 v11, v8
	global_store_dwordx4 v[6:7], v[68:71], off
	v_lshlrev_b64 v[6:7], 4, v[10:11]
	v_add_u32_e32 v10, 0x64, v28
	v_mad_u64_u32 v[8:9], s[4:5], s2, v10, 0
	v_add_co_u32_e32 v6, vcc, v4, v6
	v_mad_u64_u32 v[9:10], s[4:5], s3, v10, v[9:10]
	v_mad_u64_u32 v[10:11], s[4:5], s2, v126, 0
	v_addc_co_u32_e32 v7, vcc, v5, v7, vcc
	global_store_dwordx4 v[6:7], v[64:67], off
	v_lshlrev_b64 v[6:7], 4, v[8:9]
	v_mov_b32_e32 v8, v11
	v_mad_u64_u32 v[8:9], s[4:5], s3, v126, v[8:9]
	v_add_co_u32_e32 v6, vcc, v4, v6
	v_addc_co_u32_e32 v7, vcc, v5, v7, vcc
	v_mov_b32_e32 v11, v8
	global_store_dwordx4 v[6:7], v[60:63], off
	v_lshlrev_b64 v[6:7], 4, v[10:11]
	v_add_u32_e32 v10, 0x55, v124
	v_mad_u64_u32 v[8:9], s[4:5], s2, v10, 0
	v_add_u32_e32 v28, 0x87, v124
	v_add_co_u32_e32 v6, vcc, v4, v6
	v_mad_u64_u32 v[9:10], s[4:5], s3, v10, v[9:10]
	v_mad_u64_u32 v[10:11], s[4:5], s2, v28, 0
	v_addc_co_u32_e32 v7, vcc, v5, v7, vcc
	global_store_dwordx4 v[6:7], v[56:59], off
	v_lshlrev_b64 v[6:7], 4, v[8:9]
	v_mov_b32_e32 v8, v11
	v_mad_u64_u32 v[8:9], s[4:5], s3, v28, v[8:9]
	v_add_co_u32_e32 v6, vcc, v4, v6
	v_mov_b32_e32 v11, v8
	v_mad_u64_u32 v[8:9], s[4:5], s2, v125, 0
	v_addc_co_u32_e32 v7, vcc, v5, v7, vcc
	global_store_dwordx4 v[6:7], v[52:55], off
	v_lshlrev_b64 v[6:7], 4, v[10:11]
	v_mad_u64_u32 v[9:10], s[4:5], s3, v125, v[9:10]
	v_add_u32_e32 v28, 0x5a, v124
	v_mad_u64_u32 v[10:11], s[4:5], s2, v28, 0
	v_add_co_u32_e32 v6, vcc, v4, v6
	v_addc_co_u32_e32 v7, vcc, v5, v7, vcc
	global_store_dwordx4 v[6:7], v[40:43], off
	v_lshlrev_b64 v[6:7], 4, v[8:9]
	v_mov_b32_e32 v8, v11
	v_mad_u64_u32 v[8:9], s[4:5], s3, v28, v[8:9]
	v_add_co_u32_e32 v6, vcc, v4, v6
	v_addc_co_u32_e32 v7, vcc, v5, v7, vcc
	v_mov_b32_e32 v11, v8
	global_store_dwordx4 v[6:7], v[36:39], off
	v_lshlrev_b64 v[6:7], 4, v[10:11]
	v_add_u32_e32 v10, 0x8c, v124
	v_mad_u64_u32 v[8:9], s[4:5], s2, v10, 0
	v_mul_hi_u32 v11, v123, s1
	v_add_co_u32_e32 v6, vcc, v4, v6
	v_mad_u64_u32 v[9:10], s[4:5], s3, v10, v[9:10]
	v_lshrrev_b32_e32 v10, 4, v11
	v_mad_u32_u24 v28, v10, s0, v123
	v_mad_u64_u32 v[10:11], s[0:1], s2, v28, 0
	v_addc_co_u32_e32 v7, vcc, v5, v7, vcc
	global_store_dwordx4 v[6:7], v[24:27], off
	v_lshlrev_b64 v[6:7], 4, v[8:9]
	v_mov_b32_e32 v8, v11
	v_mad_u64_u32 v[8:9], s[0:1], s3, v28, v[8:9]
	v_add_co_u32_e32 v6, vcc, v4, v6
	v_addc_co_u32_e32 v7, vcc, v5, v7, vcc
	v_mov_b32_e32 v11, v8
	global_store_dwordx4 v[6:7], v[20:23], off
	v_lshlrev_b64 v[6:7], 4, v[10:11]
	v_add_u32_e32 v10, 50, v28
	v_mad_u64_u32 v[8:9], s[0:1], s2, v10, 0
	v_add_u32_e32 v20, 0x64, v28
	v_add_co_u32_e32 v6, vcc, v4, v6
	v_mad_u64_u32 v[9:10], s[0:1], s3, v10, v[9:10]
	v_mad_u64_u32 v[10:11], s[0:1], s2, v20, 0
	v_addc_co_u32_e32 v7, vcc, v5, v7, vcc
	global_store_dwordx4 v[6:7], v[16:19], off
	v_lshlrev_b64 v[6:7], 4, v[8:9]
	v_mov_b32_e32 v8, v11
	v_mad_u64_u32 v[8:9], s[0:1], s3, v20, v[8:9]
	v_add_co_u32_e32 v6, vcc, v4, v6
	v_addc_co_u32_e32 v7, vcc, v5, v7, vcc
	v_mov_b32_e32 v11, v8
	global_store_dwordx4 v[6:7], v[12:15], off
	v_lshlrev_b64 v[6:7], 4, v[10:11]
	v_add_co_u32_e32 v4, vcc, v4, v6
	v_addc_co_u32_e32 v5, vcc, v5, v7, vcc
	global_store_dwordx4 v[4:5], v[0:3], off
.LBB0_14:
	s_endpgm
	.section	.rodata,"a",@progbits
	.p2align	6, 0x0
	.amdhsa_kernel fft_rtc_back_len150_factors_10_5_3_wgs_60_tpt_5_halfLds_dp_ip_CI_sbrr_dirReg
		.amdhsa_group_segment_fixed_size 0
		.amdhsa_private_segment_fixed_size 0
		.amdhsa_kernarg_size 88
		.amdhsa_user_sgpr_count 6
		.amdhsa_user_sgpr_private_segment_buffer 1
		.amdhsa_user_sgpr_dispatch_ptr 0
		.amdhsa_user_sgpr_queue_ptr 0
		.amdhsa_user_sgpr_kernarg_segment_ptr 1
		.amdhsa_user_sgpr_dispatch_id 0
		.amdhsa_user_sgpr_flat_scratch_init 0
		.amdhsa_user_sgpr_private_segment_size 0
		.amdhsa_uses_dynamic_stack 0
		.amdhsa_system_sgpr_private_segment_wavefront_offset 0
		.amdhsa_system_sgpr_workgroup_id_x 1
		.amdhsa_system_sgpr_workgroup_id_y 0
		.amdhsa_system_sgpr_workgroup_id_z 0
		.amdhsa_system_sgpr_workgroup_info 0
		.amdhsa_system_vgpr_workitem_id 0
		.amdhsa_next_free_vgpr 242
		.amdhsa_next_free_sgpr 24
		.amdhsa_reserve_vcc 1
		.amdhsa_reserve_flat_scratch 0
		.amdhsa_float_round_mode_32 0
		.amdhsa_float_round_mode_16_64 0
		.amdhsa_float_denorm_mode_32 3
		.amdhsa_float_denorm_mode_16_64 3
		.amdhsa_dx10_clamp 1
		.amdhsa_ieee_mode 1
		.amdhsa_fp16_overflow 0
		.amdhsa_exception_fp_ieee_invalid_op 0
		.amdhsa_exception_fp_denorm_src 0
		.amdhsa_exception_fp_ieee_div_zero 0
		.amdhsa_exception_fp_ieee_overflow 0
		.amdhsa_exception_fp_ieee_underflow 0
		.amdhsa_exception_fp_ieee_inexact 0
		.amdhsa_exception_int_div_zero 0
	.end_amdhsa_kernel
	.text
.Lfunc_end0:
	.size	fft_rtc_back_len150_factors_10_5_3_wgs_60_tpt_5_halfLds_dp_ip_CI_sbrr_dirReg, .Lfunc_end0-fft_rtc_back_len150_factors_10_5_3_wgs_60_tpt_5_halfLds_dp_ip_CI_sbrr_dirReg
                                        ; -- End function
	.section	.AMDGPU.csdata,"",@progbits
; Kernel info:
; codeLenInByte = 15820
; NumSgprs: 28
; NumVgprs: 242
; ScratchSize: 0
; MemoryBound: 1
; FloatMode: 240
; IeeeMode: 1
; LDSByteSize: 0 bytes/workgroup (compile time only)
; SGPRBlocks: 3
; VGPRBlocks: 60
; NumSGPRsForWavesPerEU: 28
; NumVGPRsForWavesPerEU: 242
; Occupancy: 1
; WaveLimiterHint : 1
; COMPUTE_PGM_RSRC2:SCRATCH_EN: 0
; COMPUTE_PGM_RSRC2:USER_SGPR: 6
; COMPUTE_PGM_RSRC2:TRAP_HANDLER: 0
; COMPUTE_PGM_RSRC2:TGID_X_EN: 1
; COMPUTE_PGM_RSRC2:TGID_Y_EN: 0
; COMPUTE_PGM_RSRC2:TGID_Z_EN: 0
; COMPUTE_PGM_RSRC2:TIDIG_COMP_CNT: 0
	.type	__hip_cuid_73b7786155a948cf,@object ; @__hip_cuid_73b7786155a948cf
	.section	.bss,"aw",@nobits
	.globl	__hip_cuid_73b7786155a948cf
__hip_cuid_73b7786155a948cf:
	.byte	0                               ; 0x0
	.size	__hip_cuid_73b7786155a948cf, 1

	.ident	"AMD clang version 19.0.0git (https://github.com/RadeonOpenCompute/llvm-project roc-6.4.0 25133 c7fe45cf4b819c5991fe208aaa96edf142730f1d)"
	.section	".note.GNU-stack","",@progbits
	.addrsig
	.addrsig_sym __hip_cuid_73b7786155a948cf
	.amdgpu_metadata
---
amdhsa.kernels:
  - .args:
      - .actual_access:  read_only
        .address_space:  global
        .offset:         0
        .size:           8
        .value_kind:     global_buffer
      - .offset:         8
        .size:           8
        .value_kind:     by_value
      - .actual_access:  read_only
        .address_space:  global
        .offset:         16
        .size:           8
        .value_kind:     global_buffer
      - .actual_access:  read_only
        .address_space:  global
        .offset:         24
        .size:           8
        .value_kind:     global_buffer
      - .offset:         32
        .size:           8
        .value_kind:     by_value
      - .actual_access:  read_only
        .address_space:  global
        .offset:         40
        .size:           8
        .value_kind:     global_buffer
      - .actual_access:  read_only
        .address_space:  global
        .offset:         48
        .size:           8
        .value_kind:     global_buffer
      - .offset:         56
        .size:           4
        .value_kind:     by_value
      - .actual_access:  read_only
        .address_space:  global
        .offset:         64
        .size:           8
        .value_kind:     global_buffer
      - .actual_access:  read_only
        .address_space:  global
        .offset:         72
        .size:           8
        .value_kind:     global_buffer
      - .address_space:  global
        .offset:         80
        .size:           8
        .value_kind:     global_buffer
    .group_segment_fixed_size: 0
    .kernarg_segment_align: 8
    .kernarg_segment_size: 88
    .language:       OpenCL C
    .language_version:
      - 2
      - 0
    .max_flat_workgroup_size: 60
    .name:           fft_rtc_back_len150_factors_10_5_3_wgs_60_tpt_5_halfLds_dp_ip_CI_sbrr_dirReg
    .private_segment_fixed_size: 0
    .sgpr_count:     28
    .sgpr_spill_count: 0
    .symbol:         fft_rtc_back_len150_factors_10_5_3_wgs_60_tpt_5_halfLds_dp_ip_CI_sbrr_dirReg.kd
    .uniform_work_group_size: 1
    .uses_dynamic_stack: false
    .vgpr_count:     242
    .vgpr_spill_count: 0
    .wavefront_size: 64
amdhsa.target:   amdgcn-amd-amdhsa--gfx906
amdhsa.version:
  - 1
  - 2
...

	.end_amdgpu_metadata
